;; amdgpu-corpus repo=ROCm/rocFFT kind=compiled arch=gfx1030 opt=O3
	.text
	.amdgcn_target "amdgcn-amd-amdhsa--gfx1030"
	.amdhsa_code_object_version 6
	.protected	bluestein_single_back_len1820_dim1_dp_op_CI_CI ; -- Begin function bluestein_single_back_len1820_dim1_dp_op_CI_CI
	.globl	bluestein_single_back_len1820_dim1_dp_op_CI_CI
	.p2align	8
	.type	bluestein_single_back_len1820_dim1_dp_op_CI_CI,@function
bluestein_single_back_len1820_dim1_dp_op_CI_CI: ; @bluestein_single_back_len1820_dim1_dp_op_CI_CI
; %bb.0:
	s_load_dwordx4 s[12:15], s[4:5], 0x28
	v_mul_u32_u24_e32 v1, 0x169, v0
	s_mov_b64 s[50:51], s[2:3]
	s_mov_b64 s[48:49], s[0:1]
	v_mov_b32_e32 v18, 0
	s_add_u32 s48, s48, s7
	v_lshrrev_b32_e32 v1, 16, v1
	s_addc_u32 s49, s49, 0
	s_mov_b32 s0, exec_lo
	v_add_nc_u32_e32 v17, s6, v1
	s_waitcnt lgkmcnt(0)
	v_cmpx_gt_u64_e64 s[12:13], v[17:18]
	s_cbranch_execz .LBB0_18
; %bb.1:
	s_clause 0x1
	s_load_dwordx4 s[8:11], s[4:5], 0x18
	s_load_dwordx4 s[0:3], s[4:5], 0x0
	v_mul_lo_u16 v1, 0xb6, v1
	v_mov_b32_e32 v18, v17
	s_mov_b32 s12, 0x4755a5e
	s_mov_b32 s13, 0x3fe2cf23
	s_load_dwordx2 s[4:5], s[4:5], 0x38
	v_sub_nc_u16 v0, v0, v1
	v_and_b32_e32 v19, 0xffff, v0
	v_lshlrev_b32_e32 v255, 4, v19
	s_waitcnt lgkmcnt(0)
	s_load_dwordx4 s[16:19], s[8:9], 0x0
	global_load_dwordx4 v[81:84], v255, s[0:1]
	v_add_co_u32 v109, s6, s0, v255
	v_add_co_ci_u32_e64 v108, null, s1, 0, s6
	v_add_co_u32 v1, vcc_lo, 0x800, v109
	v_add_co_ci_u32_e32 v2, vcc_lo, 0, v108, vcc_lo
	v_add_co_u32 v3, vcc_lo, 0x1000, v109
	v_add_co_ci_u32_e32 v4, vcc_lo, 0, v108, vcc_lo
	;; [unrolled: 2-line block ×3, first 2 shown]
	s_waitcnt lgkmcnt(0)
	v_mad_u64_u32 v[13:14], null, s16, v19, 0
	buffer_store_dword v18, off, s[48:51], 0 offset:36 ; 4-byte Folded Spill
	buffer_store_dword v19, off, s[48:51], 0 offset:40 ; 4-byte Folded Spill
	v_mad_u64_u32 v[11:12], null, s18, v17, 0
	v_add_co_u32 v7, vcc_lo, 0x2800, v109
	v_add_co_ci_u32_e32 v8, vcc_lo, 0, v108, vcc_lo
	v_add_co_u32 v9, vcc_lo, 0x3800, v109
	v_add_co_ci_u32_e32 v10, vcc_lo, 0, v108, vcc_lo
	v_add_co_u32 v15, vcc_lo, 0x4000, v109
	v_mad_u64_u32 v[17:18], null, s19, v17, v[12:13]
	v_add_co_ci_u32_e32 v16, vcc_lo, 0, v108, vcc_lo
	v_add_co_u32 v33, vcc_lo, 0x4800, v109
	v_add_co_ci_u32_e32 v34, vcc_lo, 0, v108, vcc_lo
	v_mov_b32_e32 v12, v17
	v_add_co_u32 v37, vcc_lo, 0x5800, v109
	global_load_dwordx4 v[97:100], v[1:2], off offset:864
	v_add_co_ci_u32_e32 v38, vcc_lo, 0, v108, vcc_lo
	v_lshlrev_b64 v[1:2], 4, v[11:12]
	v_add_co_u32 v39, vcc_lo, 0x6000, v109
	v_add_co_ci_u32_e32 v40, vcc_lo, 0, v108, vcc_lo
	s_mul_i32 s0, s17, 0xb60
	v_add_co_u32 v1, vcc_lo, s14, v1
	v_add_co_ci_u32_e32 v2, vcc_lo, s15, v2, vcc_lo
	s_mul_hi_u32 s1, s16, 0xb60
	s_mul_i32 s6, s16, 0xb60
	s_add_i32 s1, s1, s0
	s_mov_b32 s15, 0xbfee6f0e
	s_mov_b32 s16, s12
	;; [unrolled: 1-line block ×4, first 2 shown]
	buffer_store_dword v19, off, s[48:51], 0 ; 4-byte Folded Spill
	v_mad_u64_u32 v[18:19], null, s17, v19, v[14:15]
	s_clause 0x4
	global_load_dwordx4 v[101:104], v[3:4], off offset:1728
	global_load_dwordx4 v[93:96], v[5:6], off offset:544
	;; [unrolled: 1-line block ×5, first 2 shown]
	s_mov_b32 s17, 0xbfe2cf23
	v_mov_b32_e32 v14, v18
	v_lshlrev_b64 v[3:4], 4, v[13:14]
	v_add_co_u32 v1, vcc_lo, v1, v3
	v_add_co_ci_u32_e32 v2, vcc_lo, v2, v4, vcc_lo
	v_add_co_u32 v5, vcc_lo, v1, s6
	v_add_co_ci_u32_e32 v6, vcc_lo, s1, v2, vcc_lo
	;; [unrolled: 2-line block ×3, first 2 shown]
	s_clause 0x1
	global_load_dwordx4 v[1:4], v[1:2], off
	global_load_dwordx4 v[5:8], v[5:6], off
	v_add_co_u32 v13, vcc_lo, v9, s6
	v_add_co_ci_u32_e32 v14, vcc_lo, s1, v10, vcc_lo
	global_load_dwordx4 v[9:12], v[9:10], off
	v_add_co_u32 v17, vcc_lo, v13, s6
	v_add_co_ci_u32_e32 v18, vcc_lo, s1, v14, vcc_lo
	;; [unrolled: 3-line block ×7, first 2 shown]
	global_load_dwordx4 v[114:117], v[33:34], off offset:1952
	global_load_dwordx4 v[33:36], v[35:36], off
	s_clause 0x1
	global_load_dwordx4 v[118:121], v[37:38], off offset:768
	global_load_dwordx4 v[122:125], v[39:40], off offset:1632
	global_load_dwordx4 v[37:40], v[41:42], off
	s_mov_b32 s0, 0x134454ff
	s_mov_b32 s1, 0x3fee6f0e
	s_mov_b32 s14, s0
	s_mov_b32 s6, 0x372fe950
	s_mov_b32 s7, 0x3fd3c6ef
	v_cmp_gt_u16_e32 vcc_lo, 0x8c, v0
	s_waitcnt vmcnt(12)
	v_mul_f64 v[41:42], v[3:4], v[83:84]
	s_waitcnt vmcnt(11)
	v_mul_f64 v[45:46], v[7:8], v[99:100]
	v_mul_f64 v[43:44], v[1:2], v[83:84]
	;; [unrolled: 1-line block ×3, first 2 shown]
	s_waitcnt vmcnt(10)
	v_mul_f64 v[49:50], v[11:12], v[103:104]
	v_mul_f64 v[51:52], v[9:10], v[103:104]
	s_waitcnt vmcnt(9)
	v_mul_f64 v[53:54], v[15:16], v[95:96]
	v_mul_f64 v[55:56], v[13:14], v[95:96]
	s_waitcnt vmcnt(8)
	v_mul_f64 v[57:58], v[19:20], v[87:88]
	v_mul_f64 v[59:60], v[17:18], v[87:88]
	s_waitcnt vmcnt(7)
	v_mul_f64 v[61:62], v[23:24], v[91:92]
	v_fma_f64 v[1:2], v[1:2], v[81:82], v[41:42]
	buffer_store_dword v81, off, s[48:51], 0 offset:20 ; 4-byte Folded Spill
	buffer_store_dword v82, off, s[48:51], 0 offset:24 ; 4-byte Folded Spill
	;; [unrolled: 1-line block ×4, first 2 shown]
	v_fma_f64 v[5:6], v[5:6], v[97:98], v[45:46]
	buffer_store_dword v97, off, s[48:51], 0 offset:92 ; 4-byte Folded Spill
	buffer_store_dword v98, off, s[48:51], 0 offset:96 ; 4-byte Folded Spill
	;; [unrolled: 1-line block ×4, first 2 shown]
	s_waitcnt vmcnt(6)
	v_mul_f64 v[65:66], v[27:28], v[112:113]
	v_mul_f64 v[63:64], v[21:22], v[91:92]
	v_fma_f64 v[9:10], v[9:10], v[101:102], v[49:50]
	buffer_store_dword v101, off, s[48:51], 0 offset:108 ; 4-byte Folded Spill
	buffer_store_dword v102, off, s[48:51], 0 offset:112 ; 4-byte Folded Spill
	;; [unrolled: 1-line block ×4, first 2 shown]
	v_mul_f64 v[67:68], v[25:26], v[112:113]
	s_waitcnt vmcnt(4)
	v_mul_f64 v[69:70], v[31:32], v[116:117]
	v_fma_f64 v[13:14], v[13:14], v[93:94], v[53:54]
	s_waitcnt vmcnt(2)
	v_mul_f64 v[73:74], v[35:36], v[120:121]
	buffer_store_dword v93, off, s[48:51], 0 offset:76 ; 4-byte Folded Spill
	buffer_store_dword v94, off, s[48:51], 0 offset:80 ; 4-byte Folded Spill
	;; [unrolled: 1-line block ×4, first 2 shown]
	s_waitcnt vmcnt(0)
	v_mul_f64 v[77:78], v[39:40], v[124:125]
	v_mul_f64 v[71:72], v[29:30], v[116:117]
	v_fma_f64 v[17:18], v[17:18], v[85:86], v[57:58]
	buffer_store_dword v85, off, s[48:51], 0 offset:44 ; 4-byte Folded Spill
	buffer_store_dword v86, off, s[48:51], 0 offset:48 ; 4-byte Folded Spill
	;; [unrolled: 1-line block ×4, first 2 shown]
	v_mul_f64 v[75:76], v[33:34], v[120:121]
	v_mul_f64 v[79:80], v[37:38], v[124:125]
	v_fma_f64 v[21:22], v[21:22], v[89:90], v[61:62]
	buffer_store_dword v89, off, s[48:51], 0 offset:60 ; 4-byte Folded Spill
	buffer_store_dword v90, off, s[48:51], 0 offset:64 ; 4-byte Folded Spill
	;; [unrolled: 1-line block ×4, first 2 shown]
	v_fma_f64 v[25:26], v[25:26], v[110:111], v[65:66]
	buffer_store_dword v110, off, s[48:51], 0 offset:124 ; 4-byte Folded Spill
	buffer_store_dword v111, off, s[48:51], 0 offset:128 ; 4-byte Folded Spill
	;; [unrolled: 1-line block ×4, first 2 shown]
                                        ; implicit-def: $vgpr112_vgpr113
	v_fma_f64 v[29:30], v[29:30], v[114:115], v[69:70]
	buffer_store_dword v114, off, s[48:51], 0 offset:140 ; 4-byte Folded Spill
	buffer_store_dword v115, off, s[48:51], 0 offset:144 ; 4-byte Folded Spill
	buffer_store_dword v116, off, s[48:51], 0 offset:148 ; 4-byte Folded Spill
	buffer_store_dword v117, off, s[48:51], 0 offset:152 ; 4-byte Folded Spill
	v_fma_f64 v[33:34], v[33:34], v[118:119], v[73:74]
	buffer_store_dword v118, off, s[48:51], 0 offset:156 ; 4-byte Folded Spill
	buffer_store_dword v119, off, s[48:51], 0 offset:160 ; 4-byte Folded Spill
	buffer_store_dword v120, off, s[48:51], 0 offset:164 ; 4-byte Folded Spill
	buffer_store_dword v121, off, s[48:51], 0 offset:168 ; 4-byte Folded Spill
	;; [unrolled: 5-line block ×3, first 2 shown]
	s_load_dwordx4 s[8:11], s[10:11], 0x0
	v_fma_f64 v[3:4], v[3:4], v[81:82], -v[43:44]
	v_fma_f64 v[7:8], v[7:8], v[97:98], -v[47:48]
	;; [unrolled: 1-line block ×10, first 2 shown]
	ds_write_b128 v255, v[1:4]
	ds_write_b128 v255, v[5:8] offset:2912
	ds_write_b128 v255, v[9:12] offset:5824
	;; [unrolled: 1-line block ×9, first 2 shown]
	s_waitcnt lgkmcnt(0)
	s_waitcnt_vscnt null, 0x0
	s_barrier
	buffer_gl0_inv
	ds_read_b128 v[1:4], v255 offset:14560
	ds_read_b128 v[5:8], v255 offset:20384
	;; [unrolled: 1-line block ×6, first 2 shown]
	ds_read_b128 v[25:28], v255
	ds_read_b128 v[29:32], v255 offset:17472
	ds_read_b128 v[33:36], v255 offset:23296
	;; [unrolled: 1-line block ×3, first 2 shown]
	s_waitcnt lgkmcnt(0)
	s_barrier
	buffer_gl0_inv
	v_add_f64 v[41:42], v[1:2], v[5:6]
	v_add_f64 v[47:48], v[3:4], v[7:8]
	;; [unrolled: 1-line block ×4, first 2 shown]
	v_add_f64 v[59:60], v[15:16], -v[11:12]
	v_add_f64 v[61:62], v[3:4], -v[7:8]
	;; [unrolled: 1-line block ×4, first 2 shown]
	v_add_f64 v[49:50], v[25:26], v[17:18]
	v_add_f64 v[51:52], v[21:22], v[29:30]
	;; [unrolled: 1-line block ×5, first 2 shown]
	v_add_f64 v[81:82], v[13:14], -v[1:2]
	v_add_f64 v[83:84], v[9:10], -v[5:6]
	;; [unrolled: 1-line block ×9, first 2 shown]
	v_fma_f64 v[41:42], v[41:42], -0.5, v[37:38]
	v_fma_f64 v[47:48], v[47:48], -0.5, v[39:40]
	;; [unrolled: 1-line block ×4, first 2 shown]
	v_add_f64 v[37:38], v[37:38], v[13:14]
	v_add_f64 v[13:14], v[1:2], -v[13:14]
	v_add_f64 v[39:40], v[39:40], v[15:16]
	v_add_f64 v[15:16], v[15:16], -v[3:4]
	v_add_f64 v[65:66], v[33:34], -v[29:30]
	;; [unrolled: 1-line block ×4, first 2 shown]
	v_add_f64 v[75:76], v[27:28], v[19:20]
	v_add_f64 v[17:18], v[17:18], -v[33:34]
	v_add_f64 v[101:102], v[21:22], -v[29:30]
	v_fma_f64 v[51:52], v[51:52], -0.5, v[25:26]
	v_add_f64 v[21:22], v[49:50], v[21:22]
	v_fma_f64 v[25:26], v[67:68], -0.5, v[25:26]
	v_fma_f64 v[49:50], v[77:78], -0.5, v[27:28]
	;; [unrolled: 1-line block ×3, first 2 shown]
	v_add_f64 v[67:68], v[81:82], v[83:84]
	v_add_f64 v[77:78], v[87:88], v[89:90]
	v_add_f64 v[103:104], v[19:20], -v[23:24]
	v_fma_f64 v[91:92], v[59:60], s[0:1], v[41:42]
	v_fma_f64 v[41:42], v[59:60], s[14:15], v[41:42]
	;; [unrolled: 1-line block ×7, first 2 shown]
	v_add_f64 v[13:14], v[13:14], v[85:86]
	v_fma_f64 v[47:48], v[71:72], s[14:15], v[47:48]
	v_add_f64 v[15:16], v[15:16], v[97:98]
	v_add_f64 v[105:106], v[35:36], -v[31:32]
	v_add_f64 v[19:20], v[23:24], -v[19:20]
	;; [unrolled: 1-line block ×3, first 2 shown]
	v_add_f64 v[57:58], v[57:58], v[65:66]
	v_add_f64 v[23:24], v[75:76], v[23:24]
	;; [unrolled: 1-line block ×4, first 2 shown]
	v_fma_f64 v[37:38], v[53:54], s[0:1], v[51:52]
	v_fma_f64 v[39:40], v[53:54], s[14:15], v[51:52]
	;; [unrolled: 1-line block ×12, first 2 shown]
	v_add_f64 v[61:62], v[69:70], v[73:74]
	v_fma_f64 v[49:50], v[17:18], s[0:1], v[49:50]
	v_fma_f64 v[69:70], v[101:102], s[0:1], v[27:28]
	;; [unrolled: 1-line block ×4, first 2 shown]
	v_add_f64 v[19:20], v[19:20], v[110:111]
	v_add_f64 v[21:22], v[21:22], v[29:30]
	;; [unrolled: 1-line block ×5, first 2 shown]
	v_fma_f64 v[5:6], v[55:56], s[12:13], v[37:38]
	v_fma_f64 v[7:8], v[55:56], s[16:17], v[39:40]
	;; [unrolled: 1-line block ×12, first 2 shown]
	v_add_f64 v[67:68], v[103:104], v[105:106]
	v_fma_f64 v[37:38], v[101:102], s[12:13], v[49:50]
	v_fma_f64 v[39:40], v[17:18], s[16:17], v[69:70]
	;; [unrolled: 1-line block ×4, first 2 shown]
                                        ; implicit-def: $vgpr96_vgpr97
                                        ; implicit-def: $vgpr100_vgpr101
	v_add_f64 v[21:22], v[21:22], v[33:34]
	v_add_f64 v[23:24], v[23:24], v[35:36]
	;; [unrolled: 1-line block ×4, first 2 shown]
	v_fma_f64 v[5:6], v[57:58], s[6:7], v[5:6]
	v_fma_f64 v[7:8], v[57:58], s[6:7], v[7:8]
	;; [unrolled: 1-line block ×4, first 2 shown]
	v_mul_f64 v[27:28], v[63:64], s[18:19]
	v_mul_f64 v[51:52], v[41:42], s[18:19]
	;; [unrolled: 1-line block ×8, first 2 shown]
	v_fma_f64 v[25:26], v[67:68], s[6:7], v[31:32]
	v_fma_f64 v[29:30], v[67:68], s[6:7], v[37:38]
	v_fma_f64 v[31:32], v[19:20], s[6:7], v[39:40]
	v_fma_f64 v[17:18], v[19:20], s[6:7], v[17:18]
	v_add_f64 v[66:67], v[23:24], -v[3:4]
	v_fma_f64 v[19:20], v[15:16], s[12:13], v[27:28]
	v_fma_f64 v[33:34], v[45:46], s[12:13], -v[51:52]
	v_fma_f64 v[13:14], v[13:14], s[6:7], v[47:48]
	v_fma_f64 v[27:28], v[43:44], s[0:1], -v[49:50]
	v_fma_f64 v[15:16], v[15:16], s[18:19], v[53:54]
	v_fma_f64 v[35:36], v[71:72], s[6:7], v[55:56]
	v_fma_f64 v[37:38], v[73:74], s[14:15], -v[59:60]
	v_fma_f64 v[39:40], v[41:42], s[16:17], -v[63:64]
	v_add_f64 v[48:49], v[21:22], v[1:2]
	v_add_f64 v[50:51], v[23:24], v[3:4]
	v_add_f64 v[64:65], v[21:22], -v[1:2]
	v_mov_b32_e32 v1, 4
	v_mul_lo_u16 v2, v0, 10
	v_lshlrev_b32_sdwa v212, v1, v2 dst_sel:DWORD dst_unused:UNUSED_PAD src0_sel:DWORD src1_sel:WORD_0
	v_add_f64 v[92:93], v[5:6], v[19:20]
	v_add_f64 v[68:69], v[7:8], v[33:34]
	;; [unrolled: 1-line block ×8, first 2 shown]
	v_add_f64 v[52:53], v[5:6], -v[19:20]
	v_add_f64 v[56:57], v[9:10], -v[13:14]
	v_add_f64 v[60:61], v[11:12], -v[27:28]
	v_add_f64 v[80:81], v[7:8], -v[33:34]
	v_add_f64 v[54:55], v[25:26], -v[15:16]
	v_add_f64 v[58:59], v[31:32], -v[35:36]
	v_add_f64 v[62:63], v[17:18], -v[37:38]
	v_add_f64 v[82:83], v[29:30], -v[39:40]
	ds_write_b128 v212, v[48:51]
	ds_write_b128 v212, v[64:67] offset:80
	ds_write_b128 v212, v[92:95] offset:16
	;; [unrolled: 1-line block ×9, first 2 shown]
	s_waitcnt lgkmcnt(0)
	s_barrier
	buffer_gl0_inv
	s_and_saveexec_b32 s0, vcc_lo
	s_cbranch_execz .LBB0_3
; %bb.2:
	ds_read_b128 v[48:51], v255
	ds_read_b128 v[92:95], v255 offset:2240
	ds_read_b128 v[88:91], v255 offset:4480
	;; [unrolled: 1-line block ×12, first 2 shown]
.LBB0_3:
	s_or_b32 exec_lo, exec_lo, s0
	buffer_load_dword v1, off, s[48:51], 0  ; 4-byte Folded Reload
	s_mov_b32 s22, 0x42a4c3d2
	s_mov_b32 s23, 0xbfea55e2
	;; [unrolled: 1-line block ×30, first 2 shown]
	s_waitcnt vmcnt(0)
	v_and_b32_e32 v0, 0xff, v1
	v_mul_lo_u16 v0, 0xcd, v0
	v_lshrrev_b16 v0, 11, v0
	buffer_store_dword v0, off, s[48:51], 0 offset:188 ; 4-byte Folded Spill
	v_mul_lo_u16 v0, v0, 10
	v_sub_nc_u16 v0, v1, v0
	v_and_b32_e32 v0, 0xff, v0
	buffer_store_dword v0, off, s[48:51], 0 offset:192 ; 4-byte Folded Spill
	v_mul_u32_u24_e32 v0, 12, v0
	v_lshlrev_b32_e32 v0, 4, v0
	s_clause 0xb
	global_load_dwordx4 v[144:147], v0, s[2:3]
	global_load_dwordx4 v[156:159], v0, s[2:3] offset:176
	global_load_dwordx4 v[152:155], v0, s[2:3] offset:16
	;; [unrolled: 1-line block ×11, first 2 shown]
	s_waitcnt vmcnt(11) lgkmcnt(11)
	v_mul_f64 v[0:1], v[92:93], v[146:147]
	s_waitcnt vmcnt(10) lgkmcnt(0)
	v_mul_f64 v[6:7], v[114:115], v[158:159]
	v_mul_f64 v[2:3], v[112:113], v[158:159]
	s_waitcnt vmcnt(9)
	v_mul_f64 v[8:9], v[88:89], v[154:155]
	v_mul_f64 v[4:5], v[94:95], v[146:147]
	;; [unrolled: 1-line block ×3, first 2 shown]
	s_waitcnt vmcnt(5)
	v_mul_f64 v[20:21], v[70:71], v[40:41]
	v_mul_f64 v[12:13], v[100:101], v[150:151]
	;; [unrolled: 1-line block ×4, first 2 shown]
	v_fma_f64 v[160:161], v[94:95], v[144:145], v[0:1]
	v_fma_f64 v[46:47], v[112:113], v[156:157], -v[6:7]
	v_mul_f64 v[6:7], v[68:69], v[40:41]
	v_fma_f64 v[42:43], v[114:115], v[156:157], v[2:3]
	v_mul_f64 v[2:3], v[86:87], v[142:143]
	v_fma_f64 v[166:167], v[90:91], v[152:153], v[8:9]
	s_waitcnt vmcnt(4)
	v_mul_f64 v[8:9], v[66:67], v[32:33]
	v_mul_f64 v[0:1], v[84:85], v[142:143]
	v_fma_f64 v[162:163], v[92:93], v[144:145], -v[4:5]
	v_mul_f64 v[4:5], v[96:97], v[138:139]
	v_fma_f64 v[164:165], v[88:89], v[152:153], -v[10:11]
	v_mul_f64 v[10:11], v[64:65], v[32:33]
	v_fma_f64 v[78:79], v[102:103], v[148:149], v[12:13]
	s_waitcnt vmcnt(3)
	v_mul_f64 v[12:13], v[80:81], v[74:75]
	v_fma_f64 v[76:77], v[100:101], v[148:149], -v[14:15]
	s_waitcnt vmcnt(1)
	v_mul_f64 v[14:15], v[58:59], v[24:25]
	v_fma_f64 v[70:71], v[70:71], v[38:39], v[6:7]
	buffer_store_dword v38, off, s[48:51], 0 offset:260 ; 4-byte Folded Spill
	buffer_store_dword v39, off, s[48:51], 0 offset:264 ; 4-byte Folded Spill
	;; [unrolled: 1-line block ×4, first 2 shown]
	v_fma_f64 v[102:103], v[84:85], v[140:141], -v[2:3]
	v_fma_f64 v[84:85], v[96:97], v[136:137], -v[16:17]
	v_mul_f64 v[2:3], v[54:55], v[28:29]
	v_fma_f64 v[100:101], v[86:87], v[140:141], v[0:1]
	v_mul_f64 v[0:1], v[82:83], v[74:75]
	v_fma_f64 v[86:87], v[98:99], v[136:137], v[4:5]
	v_mul_f64 v[4:5], v[52:53], v[28:29]
	v_mul_f64 v[6:7], v[56:57], v[24:25]
	v_add_f64 v[44:45], v[166:167], -v[78:79]
	v_add_f64 v[184:185], v[162:163], v[46:47]
	v_add_f64 v[18:19], v[160:161], -v[42:43]
	v_add_f64 v[168:169], v[164:165], v[76:77]
	v_mul_f64 v[210:211], v[44:45], s[24:25]
	v_mul_f64 v[223:224], v[44:45], s[30:31]
	;; [unrolled: 1-line block ×10, first 2 shown]
	v_fma_f64 v[18:19], v[184:185], s[18:19], v[104:105]
	v_add_f64 v[18:19], v[48:49], v[18:19]
	v_fma_f64 v[96:97], v[68:69], v[38:39], -v[20:21]
	v_fma_f64 v[68:69], v[64:65], v[30:31], -v[8:9]
	buffer_store_dword v30, off, s[48:51], 0 offset:228 ; 4-byte Folded Spill
	buffer_store_dword v31, off, s[48:51], 0 offset:232 ; 4-byte Folded Spill
	;; [unrolled: 1-line block ×4, first 2 shown]
	s_waitcnt vmcnt(0)
	v_mul_f64 v[8:9], v[60:61], v[36:37]
	v_fma_f64 v[98:99], v[66:67], v[30:31], v[10:11]
	v_fma_f64 v[66:67], v[82:83], v[72:73], v[12:13]
	buffer_store_dword v72, off, s[48:51], 0 offset:276 ; 4-byte Folded Spill
	buffer_store_dword v73, off, s[48:51], 0 offset:280 ; 4-byte Folded Spill
	;; [unrolled: 1-line block ×4, first 2 shown]
	v_add_f64 v[188:189], v[70:71], v[66:67]
	v_fma_f64 v[64:65], v[80:81], v[72:73], -v[0:1]
	v_fma_f64 v[80:81], v[52:53], v[26:27], -v[2:3]
	buffer_store_dword v26, off, s[48:51], 0 offset:212 ; 4-byte Folded Spill
	buffer_store_dword v27, off, s[48:51], 0 offset:216 ; 4-byte Folded Spill
	;; [unrolled: 1-line block ×4, first 2 shown]
	v_mul_f64 v[0:1], v[62:63], v[36:37]
	v_fma_f64 v[2:3], v[184:185], s[0:1], v[186:187]
	v_add_f64 v[72:73], v[100:101], -v[86:87]
	v_add_f64 v[182:183], v[96:97], v[64:65]
	v_add_f64 v[110:111], v[96:97], -v[64:65]
	v_fma_f64 v[52:53], v[60:61], v[34:35], -v[0:1]
	v_add_f64 v[2:3], v[48:49], v[2:3]
	v_mul_f64 v[32:33], v[72:73], s[30:31]
	v_mul_f64 v[219:220], v[72:73], s[38:39]
	v_mul_f64 v[253:254], v[72:73], s[22:23]
	v_mul_f64 v[190:191], v[110:111], s[24:25]
	v_mul_f64 v[227:228], v[110:111], s[28:29]
	v_add_f64 v[178:179], v[68:69], v[52:53]
	v_add_f64 v[118:119], v[68:69], -v[52:53]
	v_mul_f64 v[192:193], v[118:119], s[26:27]
	v_mul_f64 v[30:31], v[118:119], s[22:23]
	v_fma_f64 v[82:83], v[54:55], v[26:27], v[4:5]
	v_mul_f64 v[4:5], v[44:45], s[22:23]
	v_fma_f64 v[54:55], v[56:57], v[22:23], -v[14:15]
	buffer_store_dword v22, off, s[48:51], 0 offset:196 ; 4-byte Folded Spill
	buffer_store_dword v23, off, s[48:51], 0 offset:200 ; 4-byte Folded Spill
	;; [unrolled: 1-line block ×8, first 2 shown]
	v_mul_f64 v[26:27], v[110:111], s[36:37]
	buffer_store_dword v4, off, s[48:51], 0 offset:380 ; 4-byte Folded Spill
	buffer_store_dword v5, off, s[48:51], 0 offset:384 ; 4-byte Folded Spill
	;; [unrolled: 1-line block ×10, first 2 shown]
	v_add_f64 v[172:173], v[80:81], v[54:55]
	v_add_f64 v[180:181], v[80:81], -v[54:55]
	v_fma_f64 v[58:59], v[58:59], v[22:23], v[6:7]
	v_fma_f64 v[56:57], v[62:63], v[34:35], v[8:9]
	v_add_f64 v[176:177], v[82:83], -v[58:59]
	v_add_f64 v[46:47], v[162:163], -v[46:47]
	v_fma_f64 v[0:1], v[168:169], s[6:7], v[4:5]
	v_add_f64 v[16:17], v[160:161], v[42:43]
	v_add_f64 v[60:61], v[164:165], -v[76:77]
	v_add_f64 v[206:207], v[166:167], v[78:79]
	v_add_f64 v[78:79], v[70:71], -v[66:67]
	v_add_f64 v[116:117], v[98:99], -v[56:57]
	v_add_f64 v[194:195], v[98:99], v[56:57]
	v_add_f64 v[174:175], v[82:83], v[58:59]
	v_mul_f64 v[24:25], v[46:47], s[20:21]
	v_add_f64 v[4:5], v[0:1], v[2:3]
	v_mul_f64 v[249:250], v[46:47], s[22:23]
	v_mul_f64 v[202:203], v[60:61], s[22:23]
	;; [unrolled: 1-line block ×4, first 2 shown]
	s_mov_b32 s21, 0x3fddbe06
	v_mul_f64 v[90:91], v[46:47], s[28:29]
	v_mul_f64 v[196:197], v[176:177], s[20:21]
	;; [unrolled: 1-line block ×11, first 2 shown]
	s_mov_b32 s37, 0x3fea55e2
	s_mov_b32 s36, s22
	v_mul_f64 v[62:63], v[46:47], s[26:27]
	v_mul_f64 v[94:95], v[60:61], s[34:35]
	v_fma_f64 v[0:1], v[16:17], s[0:1], -v[24:25]
	v_mul_f64 v[229:230], v[116:117], s[20:21]
	v_mul_f64 v[231:232], v[118:119], s[20:21]
	v_fma_f64 v[2:3], v[206:207], s[6:7], -v[202:203]
	v_mul_f64 v[106:107], v[46:47], s[30:31]
	v_fma_f64 v[28:29], v[206:207], s[14:15], -v[245:246]
	v_fma_f64 v[76:77], v[206:207], s[16:17], -v[94:95]
	v_add_f64 v[0:1], v[50:51], v[0:1]
	v_add_f64 v[6:7], v[2:3], v[0:1]
	;; [unrolled: 1-line block ×3, first 2 shown]
	buffer_store_dword v84, off, s[48:51], 0 offset:340 ; 4-byte Folded Spill
	buffer_store_dword v85, off, s[48:51], 0 offset:344 ; 4-byte Folded Spill
	;; [unrolled: 1-line block ×4, first 2 shown]
	v_mul_f64 v[0:1], v[72:73], s[28:29]
	v_mul_f64 v[72:73], v[72:73], s[26:27]
	v_fma_f64 v[8:9], v[2:3], s[16:17], v[0:1]
	v_add_f64 v[4:5], v[8:9], v[4:5]
	v_add_f64 v[74:75], v[102:103], -v[84:85]
	v_add_f64 v[200:201], v[100:101], v[86:87]
	v_mul_f64 v[86:87], v[60:61], s[20:21]
	v_mul_f64 v[198:199], v[74:75], s[28:29]
	;; [unrolled: 1-line block ×5, first 2 shown]
	s_mov_b32 s29, 0x3fcea1e5
	s_mov_b32 s28, s30
	v_mul_f64 v[88:89], v[74:75], s[22:23]
	v_mul_f64 v[213:214], v[116:117], s[28:29]
	;; [unrolled: 1-line block ×5, first 2 shown]
	v_fma_f64 v[46:47], v[206:207], s[0:1], -v[86:87]
	v_fma_f64 v[8:9], v[200:201], s[16:17], -v[198:199]
	v_add_f64 v[6:7], v[8:9], v[6:7]
	v_mul_f64 v[8:9], v[78:79], s[24:25]
	buffer_store_dword v8, off, s[48:51], 0 offset:404 ; 4-byte Folded Spill
	buffer_store_dword v9, off, s[48:51], 0 offset:408 ; 4-byte Folded Spill
	v_fma_f64 v[8:9], v[182:183], s[12:13], v[8:9]
	v_add_f64 v[4:5], v[8:9], v[4:5]
	v_fma_f64 v[8:9], v[188:189], s[12:13], -v[190:191]
	v_add_f64 v[6:7], v[8:9], v[6:7]
	v_mul_f64 v[8:9], v[116:117], s[26:27]
	buffer_store_dword v8, off, s[48:51], 0 offset:396 ; 4-byte Folded Spill
	buffer_store_dword v9, off, s[48:51], 0 offset:400 ; 4-byte Folded Spill
	v_fma_f64 v[8:9], v[178:179], s[14:15], v[8:9]
	v_add_f64 v[4:5], v[8:9], v[4:5]
	;; [unrolled: 7-line block ×3, first 2 shown]
	v_mul_f64 v[4:5], v[180:181], s[30:31]
	v_fma_f64 v[8:9], v[206:207], s[12:13], -v[215:216]
	buffer_store_dword v4, off, s[48:51], 0 offset:388 ; 4-byte Folded Spill
	buffer_store_dword v5, off, s[48:51], 0 offset:392 ; 4-byte Folded Spill
	s_waitcnt_vscnt null, 0x0
	s_barrier
	buffer_gl0_inv
	v_fma_f64 v[4:5], v[174:175], s[18:19], -v[4:5]
	v_add_f64 v[114:115], v[4:5], v[6:7]
	v_fma_f64 v[4:5], v[184:185], s[6:7], v[247:248]
	v_fma_f64 v[6:7], v[168:169], s[12:13], v[210:211]
	v_add_f64 v[4:5], v[48:49], v[4:5]
	v_add_f64 v[4:5], v[6:7], v[4:5]
	v_fma_f64 v[6:7], v[16:17], s[6:7], -v[249:250]
	v_add_f64 v[6:7], v[50:51], v[6:7]
	v_add_f64 v[6:7], v[8:9], v[6:7]
	v_fma_f64 v[8:9], v[2:3], s[18:19], v[32:33]
	v_add_f64 v[4:5], v[8:9], v[4:5]
	v_fma_f64 v[8:9], v[200:201], s[18:19], -v[34:35]
	v_add_f64 v[6:7], v[8:9], v[6:7]
	v_fma_f64 v[8:9], v[182:183], s[14:15], v[20:21]
	v_add_f64 v[4:5], v[8:9], v[4:5]
	v_fma_f64 v[8:9], v[188:189], s[14:15], -v[26:27]
	v_add_f64 v[6:7], v[8:9], v[6:7]
	v_mul_f64 v[8:9], v[116:117], s[34:35]
	v_fma_f64 v[10:11], v[178:179], s[16:17], v[8:9]
	v_add_f64 v[4:5], v[10:11], v[4:5]
	v_mul_f64 v[10:11], v[118:119], s[34:35]
	v_fma_f64 v[12:13], v[194:195], s[16:17], -v[10:11]
	v_add_f64 v[6:7], v[12:13], v[6:7]
	v_fma_f64 v[12:13], v[172:173], s[0:1], v[196:197]
	v_add_f64 v[120:121], v[12:13], v[4:5]
	v_fma_f64 v[4:5], v[174:175], s[0:1], -v[204:205]
	v_fma_f64 v[12:13], v[206:207], s[18:19], -v[233:234]
	v_add_f64 v[122:123], v[4:5], v[6:7]
	v_fma_f64 v[4:5], v[184:185], s[16:17], v[92:93]
	v_fma_f64 v[6:7], v[168:169], s[18:19], v[223:224]
	v_add_f64 v[4:5], v[48:49], v[4:5]
	v_add_f64 v[4:5], v[6:7], v[4:5]
	v_fma_f64 v[6:7], v[16:17], s[16:17], -v[90:91]
	v_add_f64 v[6:7], v[50:51], v[6:7]
	v_add_f64 v[6:7], v[12:13], v[6:7]
	v_fma_f64 v[12:13], v[2:3], s[12:13], v[219:220]
	v_add_f64 v[4:5], v[12:13], v[4:5]
	v_fma_f64 v[12:13], v[200:201], s[12:13], -v[221:222]
	v_add_f64 v[6:7], v[12:13], v[6:7]
	v_fma_f64 v[12:13], v[182:183], s[0:1], v[38:39]
	v_add_f64 v[4:5], v[12:13], v[4:5]
	v_fma_f64 v[12:13], v[188:189], s[0:1], -v[208:209]
	v_add_f64 v[6:7], v[12:13], v[6:7]
	v_fma_f64 v[12:13], v[178:179], s[6:7], v[22:23]
	v_add_f64 v[12:13], v[12:13], v[4:5]
	v_fma_f64 v[4:5], v[194:195], s[6:7], -v[30:31]
	v_add_f64 v[14:15], v[4:5], v[6:7]
	v_mul_f64 v[4:5], v[176:177], s[26:27]
	v_fma_f64 v[6:7], v[172:173], s[14:15], v[4:5]
	v_add_f64 v[124:125], v[6:7], v[12:13]
	v_mul_f64 v[6:7], v[180:181], s[26:27]
	v_fma_f64 v[12:13], v[174:175], s[14:15], -v[6:7]
	v_add_f64 v[126:127], v[12:13], v[14:15]
	v_fma_f64 v[12:13], v[184:185], s[12:13], v[40:41]
	v_fma_f64 v[14:15], v[168:169], s[14:15], v[243:244]
	v_add_f64 v[12:13], v[48:49], v[12:13]
	v_add_f64 v[12:13], v[14:15], v[12:13]
	v_fma_f64 v[14:15], v[16:17], s[12:13], -v[42:43]
	v_add_f64 v[14:15], v[50:51], v[14:15]
	v_add_f64 v[14:15], v[28:29], v[14:15]
	v_fma_f64 v[28:29], v[2:3], s[0:1], v[235:236]
	v_add_f64 v[12:13], v[28:29], v[12:13]
	v_fma_f64 v[28:29], v[200:201], s[0:1], -v[237:238]
	v_add_f64 v[14:15], v[28:29], v[14:15]
	v_fma_f64 v[28:29], v[182:183], s[16:17], v[225:226]
	v_add_f64 v[12:13], v[28:29], v[12:13]
	v_fma_f64 v[28:29], v[188:189], s[16:17], -v[227:228]
	v_add_f64 v[14:15], v[28:29], v[14:15]
	v_fma_f64 v[28:29], v[178:179], s[18:19], v[213:214]
	v_add_f64 v[28:29], v[28:29], v[12:13]
	v_fma_f64 v[12:13], v[194:195], s[18:19], -v[217:218]
	v_add_f64 v[36:37], v[12:13], v[14:15]
	v_mul_f64 v[12:13], v[176:177], s[36:37]
	v_fma_f64 v[14:15], v[172:173], s[6:7], v[12:13]
	v_add_f64 v[128:129], v[14:15], v[28:29]
	v_mul_f64 v[14:15], v[180:181], s[36:37]
	;; [unrolled: 25-line block ×3, first 2 shown]
	v_fma_f64 v[76:77], v[174:175], s[12:13], -v[36:37]
	v_add_f64 v[134:135], v[76:77], v[84:85]
	v_mul_f64 v[76:77], v[44:45], s[20:21]
	v_mul_f64 v[84:85], v[74:75], s[26:27]
	v_fma_f64 v[44:45], v[168:169], s[0:1], v[76:77]
	v_add_f64 v[18:19], v[44:45], v[18:19]
	v_fma_f64 v[44:45], v[16:17], s[18:19], -v[106:107]
	v_add_f64 v[44:45], v[50:51], v[44:45]
	v_add_f64 v[44:45], v[46:47], v[44:45]
	v_fma_f64 v[46:47], v[2:3], s[14:15], v[72:73]
	v_add_f64 v[46:47], v[46:47], v[18:19]
	v_fma_f64 v[18:19], v[200:201], s[14:15], -v[84:85]
	v_add_f64 v[44:45], v[18:19], v[44:45]
	v_mul_f64 v[18:19], v[78:79], s[36:37]
	v_fma_f64 v[60:61], v[182:183], s[6:7], v[18:19]
	v_add_f64 v[60:61], v[60:61], v[46:47]
	v_mul_f64 v[46:47], v[110:111], s[36:37]
	v_fma_f64 v[74:75], v[188:189], s[6:7], -v[46:47]
	v_add_f64 v[74:75], v[74:75], v[44:45]
	v_mul_f64 v[44:45], v[116:117], s[24:25]
	v_fma_f64 v[78:79], v[178:179], s[12:13], v[44:45]
	v_add_f64 v[110:111], v[78:79], v[60:61]
	v_mul_f64 v[78:79], v[118:119], s[24:25]
	v_fma_f64 v[60:61], v[194:195], s[12:13], -v[78:79]
	v_add_f64 v[118:119], v[60:61], v[74:75]
	v_mul_f64 v[74:75], v[176:177], s[34:35]
	v_mul_f64 v[60:61], v[180:181], s[34:35]
	v_fma_f64 v[116:117], v[172:173], s[16:17], v[74:75]
	v_add_f64 v[116:117], v[116:117], v[110:111]
	v_fma_f64 v[110:111], v[174:175], s[16:17], -v[60:61]
	v_add_f64 v[118:119], v[110:111], v[118:119]
	s_and_saveexec_b32 s20, vcc_lo
	s_cbranch_execz .LBB0_5
; %bb.4:
	v_mul_f64 v[110:111], v[16:17], s[18:19]
	v_mul_f64 v[176:177], v[184:185], s[6:7]
	v_add_f64 v[160:161], v[50:51], v[160:161]
	v_add_f64 v[162:163], v[48:49], v[162:163]
	v_mul_f64 v[180:181], v[206:207], s[6:7]
	v_add_f64 v[106:107], v[106:107], v[110:111]
	v_mul_f64 v[110:111], v[184:185], s[18:19]
	v_add_f64 v[176:177], v[176:177], -v[247:248]
	v_add_f64 v[180:181], v[202:203], v[180:181]
	v_mul_f64 v[202:203], v[2:3], s[12:13]
	v_add_f64 v[106:107], v[50:51], v[106:107]
	v_add_f64 v[104:105], v[110:111], -v[104:105]
	v_mul_f64 v[110:111], v[16:17], s[14:15]
	v_add_f64 v[176:177], v[48:49], v[176:177]
	v_add_f64 v[202:203], v[202:203], -v[219:220]
	v_add_f64 v[104:105], v[48:49], v[104:105]
	v_add_f64 v[62:63], v[62:63], v[110:111]
	v_mul_f64 v[110:111], v[184:185], s[14:15]
	v_add_f64 v[62:63], v[50:51], v[62:63]
	v_add_f64 v[110:111], v[110:111], -v[170:171]
	v_mul_f64 v[170:171], v[16:17], s[12:13]
	v_add_f64 v[110:111], v[48:49], v[110:111]
	v_add_f64 v[42:43], v[42:43], v[170:171]
	v_mul_f64 v[170:171], v[184:185], s[12:13]
	v_add_f64 v[42:43], v[50:51], v[42:43]
	v_add_f64 v[40:41], v[170:171], -v[40:41]
	v_mul_f64 v[170:171], v[16:17], s[16:17]
	;; [unrolled: 6-line block ×3, first 2 shown]
	v_mul_f64 v[16:17], v[16:17], s[0:1]
	v_add_f64 v[92:93], v[48:49], v[92:93]
	v_add_f64 v[170:171], v[249:250], v[170:171]
	;; [unrolled: 1-line block ×3, first 2 shown]
	v_mul_f64 v[24:25], v[184:185], s[0:1]
	v_mul_f64 v[184:185], v[168:169], s[6:7]
	v_add_f64 v[170:171], v[50:51], v[170:171]
	v_add_f64 v[16:17], v[50:51], v[16:17]
	v_add_f64 v[24:25], v[24:25], -v[186:187]
	v_add_f64 v[50:51], v[162:163], v[164:165]
	v_mul_f64 v[162:163], v[206:207], s[18:19]
	v_mul_f64 v[164:165], v[206:207], s[12:13]
	s_clause 0x1
	buffer_load_dword v186, off, s[48:51], 0 offset:380
	buffer_load_dword v187, off, s[48:51], 0 offset:384
	v_add_f64 v[16:17], v[180:181], v[16:17]
	v_add_f64 v[24:25], v[48:49], v[24:25]
	;; [unrolled: 1-line block ×3, first 2 shown]
	v_mul_f64 v[160:161], v[206:207], s[0:1]
	v_add_f64 v[50:51], v[50:51], v[102:103]
	v_mul_f64 v[102:103], v[206:207], s[14:15]
	v_add_f64 v[162:163], v[233:234], v[162:163]
	v_add_f64 v[164:165], v[215:216], v[164:165]
	v_mul_f64 v[166:167], v[168:169], s[12:13]
	v_add_f64 v[48:49], v[48:49], v[100:101]
	v_mul_f64 v[100:101], v[174:175], s[16:17]
	v_add_f64 v[50:51], v[50:51], v[96:97]
	v_add_f64 v[86:87], v[86:87], v[160:161]
	v_mul_f64 v[160:161], v[168:169], s[0:1]
	v_mul_f64 v[96:97], v[200:201], s[0:1]
	v_add_f64 v[102:103], v[245:246], v[102:103]
	v_add_f64 v[90:91], v[162:163], v[90:91]
	v_add_f64 v[166:167], v[166:167], -v[210:211]
	v_add_f64 v[48:49], v[48:49], v[70:71]
	v_add_f64 v[60:61], v[60:61], v[100:101]
	v_mul_f64 v[100:101], v[200:201], s[14:15]
	v_mul_f64 v[70:71], v[2:3], s[6:7]
	v_add_f64 v[50:51], v[50:51], v[68:69]
	v_mul_f64 v[68:69], v[188:189], s[16:17]
	v_add_f64 v[76:77], v[160:161], -v[76:77]
	v_add_f64 v[96:97], v[237:238], v[96:97]
	v_add_f64 v[42:43], v[102:103], v[42:43]
	v_mul_f64 v[160:161], v[168:169], s[14:15]
	v_add_f64 v[86:87], v[86:87], v[106:107]
	v_mul_f64 v[106:107], v[194:195], s[6:7]
	v_add_f64 v[102:103], v[166:167], v[176:177]
	v_add_f64 v[48:49], v[48:49], v[98:99]
	v_mul_f64 v[98:99], v[2:3], s[0:1]
	v_add_f64 v[84:85], v[84:85], v[100:101]
	v_mul_f64 v[100:101], v[2:3], s[14:15]
	v_add_f64 v[50:51], v[50:51], v[80:81]
	v_add_f64 v[68:69], v[227:228], v[68:69]
	;; [unrolled: 1-line block ×3, first 2 shown]
	v_add_f64 v[70:71], v[70:71], -v[253:254]
	v_add_f64 v[42:43], v[96:97], v[42:43]
	v_add_f64 v[160:161], v[160:161], -v[243:244]
	v_mul_f64 v[80:81], v[194:195], s[18:19]
	v_add_f64 v[30:31], v[30:31], v[106:107]
	v_mul_f64 v[104:105], v[178:179], s[18:19]
	v_add_f64 v[48:49], v[48:49], v[82:83]
	v_mul_f64 v[82:83], v[182:183], s[16:17]
	v_add_f64 v[98:99], v[98:99], -v[235:236]
	v_add_f64 v[72:73], v[100:101], -v[72:73]
	v_mul_f64 v[100:101], v[194:195], s[12:13]
	v_add_f64 v[50:51], v[50:51], v[54:55]
	v_mul_f64 v[54:55], v[178:179], s[6:7]
	v_add_f64 v[84:85], v[84:85], v[86:87]
	v_add_f64 v[42:43], v[68:69], v[42:43]
	v_add_f64 v[40:41], v[160:161], v[40:41]
	v_add_f64 v[80:81], v[217:218], v[80:81]
	v_add_f64 v[104:105], v[104:105], -v[213:214]
	v_add_f64 v[48:49], v[48:49], v[58:59]
	v_add_f64 v[82:83], v[82:83], -v[225:226]
	v_mul_f64 v[58:59], v[178:179], s[0:1]
	v_add_f64 v[72:73], v[72:73], v[76:77]
	v_add_f64 v[78:79], v[78:79], v[100:101]
	v_mul_f64 v[100:101], v[188:189], s[6:7]
	v_add_f64 v[50:51], v[50:51], v[52:53]
	v_mul_f64 v[52:53], v[178:179], s[14:15]
	v_add_f64 v[22:23], v[54:55], -v[22:23]
	v_add_f64 v[40:41], v[98:99], v[40:41]
	v_mul_f64 v[54:55], v[194:195], s[16:17]
	v_add_f64 v[48:49], v[48:49], v[56:57]
	v_add_f64 v[58:59], v[58:59], -v[229:230]
	v_add_f64 v[46:47], v[46:47], v[100:101]
	v_mul_f64 v[100:101], v[172:173], s[16:17]
	v_add_f64 v[50:51], v[50:51], v[64:65]
	v_mul_f64 v[64:65], v[174:175], s[12:13]
	;; [unrolled: 2-line block ×3, first 2 shown]
	v_add_f64 v[48:49], v[48:49], v[66:67]
	v_add_f64 v[46:47], v[46:47], v[84:85]
	v_add_f64 v[74:75], v[100:101], -v[74:75]
	v_mul_f64 v[100:101], v[178:179], s[12:13]
	v_add_f64 v[36:37], v[36:37], v[64:65]
	v_mul_f64 v[64:65], v[172:173], s[6:7]
	v_add_f64 v[8:9], v[54:55], -v[8:9]
	v_mul_f64 v[54:55], v[194:195], s[14:15]
	v_add_f64 v[46:47], v[78:79], v[46:47]
	v_add_f64 v[44:45], v[100:101], -v[44:45]
	v_mul_f64 v[100:101], v[182:183], s[6:7]
	v_add_f64 v[54:55], v[192:193], v[54:55]
	v_add_f64 v[18:19], v[100:101], -v[18:19]
	v_mul_f64 v[100:101], v[200:201], s[6:7]
	v_add_f64 v[18:19], v[18:19], v[72:73]
	v_add_f64 v[88:89], v[88:89], v[100:101]
	v_mul_f64 v[100:101], v[206:207], s[16:17]
	v_mul_f64 v[206:207], v[200:201], s[18:19]
	;; [unrolled: 1-line block ×3, first 2 shown]
	v_add_f64 v[18:19], v[44:45], v[18:19]
	v_add_f64 v[94:95], v[94:95], v[100:101]
	;; [unrolled: 1-line block ×3, first 2 shown]
	v_mul_f64 v[206:207], v[2:3], s[18:19]
	v_mul_f64 v[2:3], v[2:3], s[16:17]
	;; [unrolled: 1-line block ×4, first 2 shown]
	v_add_f64 v[62:63], v[94:95], v[62:63]
	v_add_f64 v[94:95], v[164:165], v[170:171]
	v_add_f64 v[32:33], v[206:207], -v[32:33]
	v_mul_f64 v[206:207], v[188:189], s[0:1]
	v_add_f64 v[0:1], v[2:3], -v[0:1]
	v_mul_f64 v[2:3], v[188:189], s[18:19]
	v_add_f64 v[100:101], v[100:101], -v[251:252]
	v_add_f64 v[168:169], v[168:169], -v[223:224]
	v_add_f64 v[56:57], v[88:89], v[62:63]
	v_add_f64 v[34:35], v[34:35], v[94:95]
	;; [unrolled: 1-line block ×3, first 2 shown]
	v_mul_f64 v[208:209], v[182:183], s[0:1]
	s_waitcnt vmcnt(0)
	v_add_f64 v[184:185], v[184:185], -v[186:187]
	v_mul_f64 v[186:187], v[200:201], s[12:13]
	v_mul_f64 v[200:201], v[200:201], s[16:17]
	v_add_f64 v[2:3], v[241:242], v[2:3]
	v_add_f64 v[100:101], v[100:101], v[110:111]
	;; [unrolled: 1-line block ×3, first 2 shown]
	v_add_f64 v[38:39], v[208:209], -v[38:39]
	v_mul_f64 v[208:209], v[188:189], s[14:15]
	v_mul_f64 v[188:189], v[188:189], s[12:13]
	v_add_f64 v[198:199], v[198:199], v[200:201]
	v_mul_f64 v[200:201], v[182:183], s[18:19]
	v_add_f64 v[2:3], v[2:3], v[56:57]
	v_add_f64 v[186:187], v[221:222], v[186:187]
	;; [unrolled: 1-line block ×6, first 2 shown]
	s_clause 0x1
	buffer_load_dword v190, off, s[48:51], 0 offset:404
	buffer_load_dword v191, off, s[48:51], 0 offset:408
	v_mul_f64 v[208:209], v[182:183], s[14:15]
	v_mul_f64 v[182:183], v[182:183], s[12:13]
	s_clause 0x5
	buffer_load_dword v66, off, s[48:51], 0 offset:396
	buffer_load_dword v67, off, s[48:51], 0 offset:400
	buffer_load_dword v44, off, s[48:51], 0 offset:356
	buffer_load_dword v45, off, s[48:51], 0 offset:360
	buffer_load_dword v68, off, s[48:51], 0 offset:340
	buffer_load_dword v69, off, s[48:51], 0 offset:344
	v_add_f64 v[200:201], v[200:201], -v[239:240]
	v_add_f64 v[62:63], v[186:187], v[90:91]
	v_add_f64 v[0:1], v[0:1], v[24:25]
	;; [unrolled: 1-line block ×7, first 2 shown]
	v_add_f64 v[20:21], v[208:209], -v[20:21]
	v_add_f64 v[40:41], v[200:201], v[70:71]
	v_add_f64 v[56:57], v[206:207], v[62:63]
	v_mul_f64 v[70:71], v[174:175], s[18:19]
	v_mul_f64 v[62:63], v[174:175], s[14:15]
	v_add_f64 v[16:17], v[188:189], v[16:17]
	v_add_f64 v[26:27], v[10:11], v[26:27]
	;; [unrolled: 1-line block ×5, first 2 shown]
	v_mul_f64 v[32:33], v[172:173], s[12:13]
	v_mul_f64 v[38:39], v[174:175], s[6:7]
	v_add_f64 v[40:41], v[58:59], v[40:41]
	v_add_f64 v[30:31], v[30:31], v[56:57]
	v_mov_b32_e32 v58, 0x82
	v_add_f64 v[16:17], v[54:55], v[16:17]
	v_add_f64 v[8:9], v[8:9], v[20:21]
	;; [unrolled: 1-line block ×3, first 2 shown]
	v_add_f64 v[28:29], v[32:33], -v[28:29]
	v_add_f64 v[14:15], v[14:15], v[38:39]
	v_add_f64 v[32:33], v[80:81], v[42:43]
	v_add_f64 v[38:39], v[64:65], -v[12:13]
	v_add_f64 v[12:13], v[6:7], v[62:63]
	v_add_f64 v[10:11], v[14:15], v[32:33]
	v_add_f64 v[14:15], v[12:13], v[30:31]
	s_waitcnt vmcnt(6)
	v_add_f64 v[182:183], v[182:183], -v[190:191]
	v_mul_f64 v[190:191], v[194:195], s[0:1]
	s_waitcnt vmcnt(4)
	v_add_f64 v[52:53], v[52:53], -v[66:67]
	s_waitcnt vmcnt(2)
	v_add_f64 v[44:45], v[48:49], v[44:45]
	v_mul_f64 v[48:49], v[172:173], s[14:15]
	v_mul_f64 v[66:67], v[174:175], s[0:1]
	s_waitcnt vmcnt(0)
	v_add_f64 v[50:51], v[50:51], v[68:69]
	v_mul_f64 v[68:69], v[172:173], s[0:1]
	v_add_f64 v[0:1], v[182:183], v[0:1]
	v_add_f64 v[190:191], v[231:232], v[190:191]
	v_add_f64 v[4:5], v[48:49], -v[4:5]
	v_add_f64 v[42:43], v[204:205], v[66:67]
	v_add_f64 v[48:49], v[68:69], -v[196:197]
	v_add_f64 v[52:53], v[52:53], v[0:1]
	v_add_f64 v[76:77], v[190:191], v[2:3]
	s_clause 0x1
	buffer_load_dword v2, off, s[48:51], 0 offset:388
	buffer_load_dword v3, off, s[48:51], 0 offset:392
	v_add_f64 v[12:13], v[4:5], v[24:25]
	v_add_f64 v[4:5], v[28:29], v[40:41]
	;; [unrolled: 1-line block ×3, first 2 shown]
	s_waitcnt vmcnt(0)
	v_add_f64 v[56:57], v[2:3], v[70:71]
	s_clause 0x3
	buffer_load_dword v2, off, s[48:51], 0 offset:372
	buffer_load_dword v3, off, s[48:51], 0 offset:376
	;; [unrolled: 1-line block ×4, first 2 shown]
	v_add_f64 v[22:23], v[56:57], v[16:17]
	v_add_f64 v[16:17], v[48:49], v[8:9]
	;; [unrolled: 1-line block ×3, first 2 shown]
	s_waitcnt vmcnt(2)
	v_add_f64 v[54:55], v[72:73], -v[2:3]
	s_waitcnt vmcnt(0)
	v_add_f64 v[44:45], v[44:45], v[0:1]
	s_clause 0x3
	buffer_load_dword v0, off, s[48:51], 0 offset:308
	buffer_load_dword v1, off, s[48:51], 0 offset:312
	;; [unrolled: 1-line block ×4, first 2 shown]
	v_add_f64 v[2:3], v[60:61], v[46:47]
	v_add_f64 v[20:21], v[54:55], v[52:53]
	s_waitcnt vmcnt(2)
	v_add_f64 v[50:51], v[50:51], v[0:1]
	v_add_f64 v[0:1], v[74:75], v[18:19]
	;; [unrolled: 1-line block ×3, first 2 shown]
	s_waitcnt vmcnt(0)
	v_add_f64 v[26:27], v[44:45], v[24:25]
	s_clause 0x3
	buffer_load_dword v24, off, s[48:51], 0 offset:292
	buffer_load_dword v25, off, s[48:51], 0 offset:296
	;; [unrolled: 1-line block ×4, first 2 shown]
	s_waitcnt vmcnt(2)
	v_add_f64 v[24:25], v[50:51], v[24:25]
	s_waitcnt vmcnt(1)
	v_mul_u32_u24_sdwa v28, v28, v58 dst_sel:DWORD dst_unused:UNUSED_PAD src0_sel:WORD_0 src1_sel:DWORD
	s_waitcnt vmcnt(0)
	v_add_lshl_u32 v28, v28, v29, 4
	ds_write_b128 v28, v[116:119] offset:1120
	ds_write_b128 v28, v[132:135] offset:1280
	;; [unrolled: 1-line block ×11, first 2 shown]
	ds_write_b128 v28, v[24:27]
	ds_write_b128 v28, v[112:115] offset:1920
.LBB0_5:
	s_or_b32 exec_lo, exec_lo, s20
	s_waitcnt lgkmcnt(0)
	s_barrier
	buffer_gl0_inv
	ds_read_b128 v[160:163], v255
	ds_read_b128 v[180:183], v255 offset:4160
	ds_read_b128 v[176:179], v255 offset:8320
	;; [unrolled: 1-line block ×6, first 2 shown]
	buffer_load_dword v0, off, s[48:51], 0  ; 4-byte Folded Reload
                                        ; implicit-def: $vgpr188_vgpr189
	s_waitcnt vmcnt(0)
	v_cmp_gt_u16_e64 s0, 0x4e, v0
	s_and_saveexec_b32 s1, s0
	s_cbranch_execz .LBB0_7
; %bb.6:
	ds_read_b128 v[116:119], v255 offset:2912
	ds_read_b128 v[132:135], v255 offset:7072
	;; [unrolled: 1-line block ×7, first 2 shown]
.LBB0_7:
	s_or_b32 exec_lo, exec_lo, s1
	buffer_load_dword v64, off, s[48:51], 0 ; 4-byte Folded Reload
	v_mov_b32_e32 v1, 0xfc1
	s_mov_b32 s16, 0x37e14327
	s_mov_b32 s6, 0x36b3c0b5
	s_mov_b32 s22, 0xe976ee23
	s_mov_b32 s12, 0x429ad128
	s_mov_b32 s17, 0x3fe948f6
	s_mov_b32 s7, 0x3fac98ee
	s_mov_b32 s23, 0xbfe11646
	s_mov_b32 s13, 0x3febfeb5
	s_mov_b32 s14, 0xaaaaaaaa
	s_mov_b32 s20, 0x5476071b
	s_mov_b32 s26, 0xb247c609
	s_mov_b32 s15, 0xbff2aaaa
	s_mov_b32 s21, 0x3fe77f67
	s_mov_b32 s25, 0xbfe77f67
	s_mov_b32 s27, 0x3fd5d0dc
	s_mov_b32 s29, 0xbfd5d0dc
	s_mov_b32 s24, s20
	s_mov_b32 s28, s26
	s_mov_b32 s18, 0x37c3f68c
	s_mov_b32 s19, 0x3fdc38aa
	s_waitcnt vmcnt(0)
	v_add_nc_u32_e32 v0, 0xb6, v64
	v_add_nc_u32_e32 v2, 0xffffff7e, v64
	v_cmp_gt_u16_e64 s1, 0x82, v64
	v_mul_u32_u24_sdwa v1, v0, v1 dst_sel:DWORD dst_unused:UNUSED_PAD src0_sel:WORD_0 src1_sel:DWORD
	v_cndmask_b32_e64 v63, v2, v64, s1
	v_lshrrev_b32_e32 v1, 19, v1
	v_mul_i32_i24_e32 v2, 0x60, v63
	v_mul_hi_i32_i24_e32 v3, 0x60, v63
	v_mul_lo_u16 v1, 0x82, v1
	v_sub_nc_u16 v62, v0, v1
	v_add_co_u32 v0, s1, s2, v2
	v_add_co_ci_u32_e64 v1, s1, s3, v3, s1
	v_mul_lo_u16 v2, 0x60, v62
	s_clause 0x3
	global_load_dwordx4 v[92:95], v[0:1], off offset:1920
	global_load_dwordx4 v[88:91], v[0:1], off offset:1936
	;; [unrolled: 1-line block ×4, first 2 shown]
	v_and_b32_e32 v2, 0xffff, v2
	v_add_co_u32 v2, s1, s2, v2
	v_add_co_ci_u32_e64 v3, null, s3, 0, s1
	v_cmp_lt_u16_e64 s1, 0x81, v64
	s_clause 0x7
	global_load_dwordx4 v[100:103], v[0:1], off offset:1984
	global_load_dwordx4 v[84:87], v[0:1], off offset:1968
	global_load_dwordx4 v[56:59], v[2:3], off offset:1920
	global_load_dwordx4 v[52:55], v[2:3], off offset:1936
	global_load_dwordx4 v[48:51], v[2:3], off offset:1952
	global_load_dwordx4 v[76:79], v[2:3], off offset:2000
	global_load_dwordx4 v[72:75], v[2:3], off offset:1968
	global_load_dwordx4 v[68:71], v[2:3], off offset:1984
	s_waitcnt vmcnt(10) lgkmcnt(4)
	v_mul_f64 v[4:5], v[178:179], v[90:91]
	v_mul_f64 v[0:1], v[182:183], v[94:95]
	;; [unrolled: 1-line block ×4, first 2 shown]
	s_waitcnt vmcnt(9) lgkmcnt(3)
	v_mul_f64 v[8:9], v[170:171], v[82:83]
	v_mul_f64 v[10:11], v[168:169], v[82:83]
	s_waitcnt vmcnt(8) lgkmcnt(0)
	v_mul_f64 v[12:13], v[186:187], v[98:99]
	v_mul_f64 v[14:15], v[184:185], v[98:99]
	s_waitcnt vmcnt(5)
	v_mul_f64 v[24:25], v[134:135], v[58:59]
	s_waitcnt vmcnt(4)
	v_mul_f64 v[28:29], v[130:131], v[54:55]
	v_mul_f64 v[26:27], v[132:133], v[58:59]
	s_waitcnt vmcnt(2)
	v_mul_f64 v[36:37], v[190:191], v[78:79]
	v_mul_f64 v[30:31], v[128:129], v[54:55]
	;; [unrolled: 1-line block ×4, first 2 shown]
	s_waitcnt vmcnt(1)
	v_mul_f64 v[40:41], v[122:123], v[74:75]
	v_mul_f64 v[34:35], v[124:125], v[50:51]
	v_mul_f64 v[42:43], v[120:121], v[74:75]
	v_mul_f64 v[16:17], v[174:175], v[102:103]
	v_mul_f64 v[18:19], v[172:173], v[102:103]
	v_mul_f64 v[20:21], v[166:167], v[86:87]
	v_mul_f64 v[22:23], v[164:165], v[86:87]
	s_waitcnt vmcnt(0)
	v_mul_f64 v[44:45], v[114:115], v[70:71]
	v_mul_f64 v[46:47], v[112:113], v[70:71]
	v_fma_f64 v[0:1], v[180:181], v[92:93], -v[0:1]
	v_fma_f64 v[2:3], v[182:183], v[92:93], v[2:3]
	v_fma_f64 v[4:5], v[176:177], v[88:89], -v[4:5]
	v_fma_f64 v[6:7], v[178:179], v[88:89], v[6:7]
	;; [unrolled: 2-line block ×3, first 2 shown]
	v_fma_f64 v[24:25], v[132:133], v[56:57], -v[24:25]
	buffer_store_dword v56, off, s[48:51], 0 offset:324 ; 4-byte Folded Spill
	buffer_store_dword v57, off, s[48:51], 0 offset:328 ; 4-byte Folded Spill
	;; [unrolled: 1-line block ×4, first 2 shown]
	v_fma_f64 v[28:29], v[128:129], v[52:53], -v[28:29]
	v_fma_f64 v[36:37], v[188:189], v[76:77], -v[36:37]
	buffer_store_dword v76, off, s[48:51], 0 offset:356 ; 4-byte Folded Spill
	buffer_store_dword v77, off, s[48:51], 0 offset:360 ; 4-byte Folded Spill
	;; [unrolled: 1-line block ×8, first 2 shown]
	v_fma_f64 v[32:33], v[124:125], v[48:49], -v[32:33]
	buffer_store_dword v48, off, s[48:51], 0 offset:292 ; 4-byte Folded Spill
	buffer_store_dword v49, off, s[48:51], 0 offset:296 ; 4-byte Folded Spill
	;; [unrolled: 1-line block ×4, first 2 shown]
	v_fma_f64 v[40:41], v[120:121], v[72:73], -v[40:41]
	buffer_store_dword v72, off, s[48:51], 0 offset:340 ; 4-byte Folded Spill
	buffer_store_dword v73, off, s[48:51], 0 offset:344 ; 4-byte Folded Spill
	;; [unrolled: 1-line block ×4, first 2 shown]
	v_fma_f64 v[16:17], v[172:173], v[100:101], -v[16:17]
	v_fma_f64 v[18:19], v[174:175], v[100:101], v[18:19]
	v_fma_f64 v[8:9], v[168:169], v[80:81], -v[8:9]
	v_fma_f64 v[10:11], v[170:171], v[80:81], v[10:11]
	;; [unrolled: 2-line block ×4, first 2 shown]
	v_add_f64 v[50:51], v[2:3], v[14:15]
	v_add_f64 v[2:3], v[2:3], -v[14:15]
	v_add_f64 v[54:55], v[6:7], v[18:19]
	v_add_f64 v[6:7], v[6:7], -v[18:19]
	;; [unrolled: 2-line block ×3, first 2 shown]
	v_add_f64 v[58:59], v[10:11], v[6:7]
	v_fma_f64 v[26:27], v[134:135], v[56:57], v[26:27]
	v_fma_f64 v[38:39], v[190:191], v[76:77], v[38:39]
	v_fma_f64 v[30:31], v[130:131], v[52:53], v[30:31]
	v_add_f64 v[52:53], v[4:5], v[16:17]
	v_fma_f64 v[34:35], v[126:127], v[48:49], v[34:35]
	v_add_f64 v[48:49], v[0:1], v[12:13]
	v_fma_f64 v[42:43], v[122:123], v[72:73], v[42:43]
	v_add_f64 v[0:1], v[0:1], -v[12:13]
	v_add_f64 v[12:13], v[8:9], v[20:21]
	v_add_f64 v[4:5], v[4:5], -v[16:17]
	v_add_f64 v[8:9], v[20:21], -v[8:9]
	v_add_f64 v[16:17], v[24:25], v[36:37]
	v_add_f64 v[20:21], v[24:25], -v[36:37]
	v_add_f64 v[24:25], v[28:29], v[44:45]
	;; [unrolled: 2-line block ×3, first 2 shown]
	v_add_f64 v[32:33], v[40:41], -v[32:33]
	v_add_f64 v[72:73], v[10:11], -v[6:7]
	;; [unrolled: 1-line block ×4, first 2 shown]
	v_add_f64 v[2:3], v[58:59], v[2:3]
	v_add_f64 v[18:19], v[26:27], v[38:39]
	v_add_f64 v[22:23], v[26:27], -v[38:39]
	v_add_f64 v[26:27], v[30:31], v[46:47]
	v_add_f64 v[30:31], v[30:31], -v[46:47]
	v_add_f64 v[40:41], v[52:53], v[48:49]
	v_add_f64 v[38:39], v[34:35], v[42:43]
	v_add_f64 v[34:35], v[42:43], -v[34:35]
	v_add_f64 v[42:43], v[54:55], v[50:51]
	v_add_f64 v[44:45], v[52:53], -v[48:49]
	v_add_f64 v[46:47], v[54:55], -v[50:51]
	;; [unrolled: 1-line block ×4, first 2 shown]
	v_add_f64 v[74:75], v[24:25], v[16:17]
	v_add_f64 v[52:53], v[12:13], -v[52:53]
	v_add_f64 v[54:55], v[14:15], -v[54:55]
	v_add_f64 v[56:57], v[8:9], v[4:5]
	v_add_f64 v[60:61], v[8:9], -v[4:5]
	v_add_f64 v[4:5], v[4:5], -v[0:1]
	v_add_f64 v[78:79], v[24:25], -v[16:17]
	v_add_f64 v[16:17], v[16:17], -v[36:37]
	v_add_f64 v[24:25], v[36:37], -v[24:25]
	v_add_f64 v[112:113], v[32:33], -v[28:29]
	v_add_f64 v[106:107], v[32:33], v[28:29]
	v_add_f64 v[28:29], v[28:29], -v[20:21]
	v_add_f64 v[76:77], v[26:27], v[18:19]
	v_add_f64 v[104:105], v[26:27], -v[18:19]
	;; [unrolled: 2-line block ×3, first 2 shown]
	v_add_f64 v[26:27], v[38:39], -v[26:27]
	v_add_f64 v[114:115], v[34:35], -v[30:31]
	v_add_f64 v[14:15], v[14:15], v[42:43]
	v_add_f64 v[110:111], v[34:35], v[30:31]
	v_add_f64 v[30:31], v[30:31], -v[22:23]
	v_add_f64 v[8:9], v[0:1], -v[8:9]
	v_add_f64 v[36:37], v[36:37], v[74:75]
	v_add_f64 v[32:33], v[20:21], -v[32:33]
	v_add_f64 v[34:35], v[22:23], -v[34:35]
	v_add_f64 v[0:1], v[56:57], v[0:1]
	v_mul_f64 v[40:41], v[48:49], s[16:17]
	v_mul_f64 v[42:43], v[50:51], s[16:17]
	;; [unrolled: 1-line block ×8, first 2 shown]
	v_add_f64 v[38:39], v[38:39], v[76:77]
	v_mul_f64 v[74:75], v[16:17], s[16:17]
	v_add_f64 v[16:17], v[160:161], v[12:13]
	v_mul_f64 v[76:77], v[18:19], s[16:17]
	v_mul_f64 v[120:121], v[112:113], s[22:23]
	;; [unrolled: 1-line block ×3, first 2 shown]
	v_add_f64 v[18:19], v[162:163], v[14:15]
	v_add_f64 v[20:21], v[106:107], v[20:21]
	;; [unrolled: 1-line block ×3, first 2 shown]
	v_mul_f64 v[106:107], v[24:25], s[6:7]
	v_add_f64 v[112:113], v[116:117], v[36:37]
	v_mul_f64 v[110:111], v[26:27], s[6:7]
	v_mul_f64 v[124:125], v[28:29], s[12:13]
	v_mul_f64 v[126:127], v[30:31], s[12:13]
	v_fma_f64 v[52:53], v[52:53], s[6:7], v[40:41]
	v_fma_f64 v[54:55], v[54:55], s[6:7], v[42:43]
	v_fma_f64 v[48:49], v[44:45], s[20:21], -v[48:49]
	v_fma_f64 v[50:51], v[46:47], s[20:21], -v[50:51]
	;; [unrolled: 1-line block ×4, first 2 shown]
	v_fma_f64 v[44:45], v[8:9], s[26:27], v[56:57]
	v_fma_f64 v[46:47], v[10:11], s[26:27], v[58:59]
	v_add_f64 v[114:115], v[118:119], v[38:39]
	v_fma_f64 v[4:5], v[4:5], s[12:13], -v[56:57]
	v_fma_f64 v[6:7], v[6:7], s[12:13], -v[58:59]
	;; [unrolled: 1-line block ×4, first 2 shown]
	v_fma_f64 v[12:13], v[12:13], s[14:15], v[16:17]
	v_fma_f64 v[14:15], v[14:15], s[14:15], v[18:19]
	;; [unrolled: 1-line block ×4, first 2 shown]
	v_fma_f64 v[60:61], v[78:79], s[24:25], -v[74:75]
	v_fma_f64 v[72:73], v[104:105], s[24:25], -v[76:77]
	v_fma_f64 v[74:75], v[32:33], s[26:27], v[120:121]
	v_fma_f64 v[76:77], v[34:35], s[26:27], v[122:123]
	v_fma_f64 v[36:37], v[36:37], s[14:15], v[112:113]
	v_fma_f64 v[56:57], v[78:79], s[20:21], -v[106:107]
	v_fma_f64 v[58:59], v[104:105], s[20:21], -v[110:111]
	;; [unrolled: 1-line block ×6, first 2 shown]
	v_fma_f64 v[44:45], v[0:1], s[18:19], v[44:45]
	v_fma_f64 v[46:47], v[2:3], s[18:19], v[46:47]
	;; [unrolled: 1-line block ×7, first 2 shown]
	v_add_f64 v[52:53], v[52:53], v[12:13]
	v_add_f64 v[54:55], v[54:55], v[14:15]
	v_add_f64 v[40:41], v[40:41], v[12:13]
	v_add_f64 v[42:43], v[42:43], v[14:15]
	v_add_f64 v[48:49], v[48:49], v[12:13]
	v_add_f64 v[50:51], v[50:51], v[14:15]
	v_fma_f64 v[2:3], v[20:21], s[18:19], v[74:75]
	v_fma_f64 v[0:1], v[22:23], s[18:19], v[76:77]
	v_add_f64 v[8:9], v[24:25], v[36:37]
	v_add_f64 v[56:57], v[56:57], v[36:37]
	;; [unrolled: 1-line block ×3, first 2 shown]
	v_fma_f64 v[74:75], v[20:21], s[18:19], v[28:29]
	v_fma_f64 v[76:77], v[22:23], s[18:19], v[30:31]
	;; [unrolled: 1-line block ×4, first 2 shown]
	v_add_f64 v[10:11], v[26:27], v[38:39]
	v_add_f64 v[58:59], v[58:59], v[38:39]
	;; [unrolled: 1-line block ×4, first 2 shown]
	v_add_f64 v[22:23], v[54:55], -v[44:45]
	v_add_f64 v[24:25], v[110:111], v[40:41]
	v_add_f64 v[26:27], v[42:43], -v[106:107]
	v_add_f64 v[36:37], v[40:41], -v[110:111]
	v_add_f64 v[38:39], v[106:107], v[42:43]
	v_add_f64 v[40:41], v[52:53], -v[46:47]
	v_add_f64 v[42:43], v[44:45], v[54:55]
	v_add_f64 v[44:45], v[8:9], -v[0:1]
	v_add_f64 v[28:29], v[48:49], -v[104:105]
	v_add_f64 v[30:31], v[78:79], v[50:51]
	v_add_f64 v[32:33], v[104:105], v[48:49]
	v_add_f64 v[160:161], v[56:57], -v[76:77]
	v_add_f64 v[164:165], v[76:77], v[56:57]
	v_add_f64 v[168:169], v[6:7], -v[4:5]
	v_add_f64 v[34:35], v[50:51], -v[78:79]
	v_add_f64 v[46:47], v[2:3], v[10:11]
	v_add_f64 v[162:163], v[74:75], v[58:59]
	v_add_f64 v[166:167], v[58:59], -v[74:75]
	v_add_f64 v[170:171], v[12:13], v[14:15]
	buffer_store_dword v44, off, s[48:51], 0 offset:4 ; 4-byte Folded Spill
	buffer_store_dword v45, off, s[48:51], 0 offset:8 ; 4-byte Folded Spill
	;; [unrolled: 1-line block ×4, first 2 shown]
	v_cndmask_b32_e64 v44, 0, 0x38e, s1
	s_waitcnt_vscnt null, 0x0
	s_barrier
	buffer_gl0_inv
	v_add_lshl_u32 v63, v63, v44, 4
	ds_write_b128 v63, v[16:19]
	ds_write_b128 v63, v[20:23] offset:2080
	ds_write_b128 v63, v[24:27] offset:4160
	;; [unrolled: 1-line block ×6, first 2 shown]
	s_and_saveexec_b32 s1, s0
	s_cbranch_execz .LBB0_9
; %bb.8:
	v_add_f64 v[2:3], v[10:11], -v[2:3]
	v_add_f64 v[0:1], v[0:1], v[8:9]
	v_add_f64 v[12:13], v[14:15], -v[12:13]
	v_add_f64 v[10:11], v[4:5], v[6:7]
	v_mov_b32_e32 v4, 4
	v_lshlrev_b32_sdwa v4, v4, v62 dst_sel:DWORD dst_unused:UNUSED_PAD src0_sel:DWORD src1_sel:WORD_0
	ds_write_b128 v4, v[112:115] offset:14560
	ds_write_b128 v4, v[160:163] offset:20800
	;; [unrolled: 1-line block ×6, first 2 shown]
	s_clause 0x3
	buffer_load_dword v0, off, s[48:51], 0 offset:4
	buffer_load_dword v1, off, s[48:51], 0 offset:8
	;; [unrolled: 1-line block ×4, first 2 shown]
	s_waitcnt vmcnt(0)
	ds_write_b128 v4, v[0:3] offset:27040
.LBB0_9:
	s_or_b32 exec_lo, exec_lo, s1
	v_add_co_u32 v48, s1, s2, v255
	v_add_co_ci_u32_e64 v49, null, s3, 0, s1
	s_waitcnt lgkmcnt(0)
	v_add_co_u32 v40, s1, 0x3800, v48
	v_add_co_ci_u32_e64 v41, s1, 0, v49, s1
	s_barrier
	buffer_gl0_inv
	ds_read_b128 v[0:3], v255
	ds_read_b128 v[4:7], v255 offset:14560
	ds_read_b128 v[8:11], v255 offset:2912
	ds_read_b128 v[12:15], v255 offset:17472
	ds_read_b128 v[16:19], v255 offset:5824
	ds_read_b128 v[20:23], v255 offset:20384
	ds_read_b128 v[24:27], v255 offset:8736
	ds_read_b128 v[28:31], v255 offset:23296
	ds_read_b128 v[32:35], v255 offset:11648
	ds_read_b128 v[36:39], v255 offset:26208
	global_load_dwordx4 v[112:115], v[40:41], off offset:64
	s_mov_b32 s16, 0x134454ff
	s_mov_b32 s17, 0xbfee6f0e
	;; [unrolled: 1-line block ×12, first 2 shown]
	s_waitcnt vmcnt(0) lgkmcnt(8)
	v_mul_f64 v[40:41], v[6:7], v[114:115]
	v_fma_f64 v[40:41], v[4:5], v[112:113], -v[40:41]
	v_mul_f64 v[4:5], v[4:5], v[114:115]
	v_fma_f64 v[6:7], v[6:7], v[112:113], v[4:5]
	v_add_co_u32 v4, s1, 0x4000, v48
	v_add_co_ci_u32_e64 v5, s1, 0, v49, s1
	global_load_dwordx4 v[116:119], v[4:5], off offset:928
	v_add_f64 v[6:7], v[2:3], -v[6:7]
	v_fma_f64 v[2:3], v[2:3], 2.0, -v[6:7]
	s_waitcnt vmcnt(0) lgkmcnt(6)
	v_mul_f64 v[4:5], v[14:15], v[118:119]
	v_fma_f64 v[42:43], v[12:13], v[116:117], -v[4:5]
	v_mul_f64 v[4:5], v[12:13], v[118:119]
	v_add_f64 v[12:13], v[8:9], -v[42:43]
	v_fma_f64 v[14:15], v[14:15], v[116:117], v[4:5]
	v_add_co_u32 v4, s1, 0x4800, v48
	v_add_co_ci_u32_e64 v5, s1, 0, v49, s1
	global_load_dwordx4 v[120:123], v[4:5], off offset:1792
	v_fma_f64 v[8:9], v[8:9], 2.0, -v[12:13]
	v_add_f64 v[14:15], v[10:11], -v[14:15]
	v_fma_f64 v[10:11], v[10:11], 2.0, -v[14:15]
	s_waitcnt vmcnt(0) lgkmcnt(4)
	v_mul_f64 v[4:5], v[22:23], v[122:123]
	v_fma_f64 v[44:45], v[20:21], v[120:121], -v[4:5]
	v_mul_f64 v[4:5], v[20:21], v[122:123]
	v_add_f64 v[20:21], v[16:17], -v[44:45]
	v_fma_f64 v[22:23], v[22:23], v[120:121], v[4:5]
	v_add_co_u32 v4, s1, 0x5800, v48
	v_add_co_ci_u32_e64 v5, s1, 0, v49, s1
	global_load_dwordx4 v[124:127], v[4:5], off offset:608
	v_fma_f64 v[16:17], v[16:17], 2.0, -v[20:21]
	;; [unrolled: 12-line block ×3, first 2 shown]
	v_add_f64 v[30:31], v[26:27], -v[30:31]
	v_fma_f64 v[26:27], v[26:27], 2.0, -v[30:31]
	s_waitcnt vmcnt(0) lgkmcnt(0)
	v_mul_f64 v[4:5], v[38:39], v[130:131]
	v_fma_f64 v[48:49], v[36:37], v[128:129], -v[4:5]
	v_mul_f64 v[4:5], v[36:37], v[130:131]
	v_add_f64 v[36:37], v[32:33], -v[48:49]
	v_fma_f64 v[38:39], v[38:39], v[128:129], v[4:5]
	v_add_f64 v[4:5], v[0:1], -v[40:41]
	v_fma_f64 v[32:33], v[32:33], 2.0, -v[36:37]
	v_add_f64 v[38:39], v[34:35], -v[38:39]
	v_fma_f64 v[0:1], v[0:1], 2.0, -v[4:5]
	v_fma_f64 v[34:35], v[34:35], 2.0, -v[38:39]
	ds_write_b128 v255, v[0:3]
	ds_write_b128 v255, v[4:7] offset:14560
	ds_write_b128 v255, v[8:11] offset:2912
	;; [unrolled: 1-line block ×9, first 2 shown]
	v_add_co_u32 v4, s1, 0x7000, v109
	v_add_co_ci_u32_e64 v5, s1, 0, v108, s1
	s_waitcnt lgkmcnt(0)
	s_barrier
	buffer_gl0_inv
	global_load_dwordx4 v[4:7], v[4:5], off offset:448
	ds_read_b128 v[0:3], v255
	s_waitcnt vmcnt(0) lgkmcnt(0)
	v_mul_f64 v[8:9], v[2:3], v[6:7]
	v_fma_f64 v[8:9], v[0:1], v[4:5], -v[8:9]
	v_mul_f64 v[0:1], v[0:1], v[6:7]
	v_fma_f64 v[10:11], v[2:3], v[4:5], v[0:1]
	v_add_co_u32 v4, s1, 0x7800, v109
	v_add_co_ci_u32_e64 v5, s1, 0, v108, s1
	ds_read_b128 v[0:3], v255 offset:2912
	global_load_dwordx4 v[4:7], v[4:5], off offset:1312
	ds_write_b128 v255, v[8:11]
	s_waitcnt vmcnt(0) lgkmcnt(1)
	v_mul_f64 v[8:9], v[2:3], v[6:7]
	v_fma_f64 v[8:9], v[0:1], v[4:5], -v[8:9]
	v_mul_f64 v[0:1], v[0:1], v[6:7]
	v_fma_f64 v[10:11], v[2:3], v[4:5], v[0:1]
	v_add_co_u32 v4, s1, 0x8800, v109
	v_add_co_ci_u32_e64 v5, s1, 0, v108, s1
	ds_read_b128 v[0:3], v255 offset:5824
	global_load_dwordx4 v[4:7], v[4:5], off offset:128
	ds_write_b128 v255, v[8:11] offset:2912
	s_waitcnt vmcnt(0) lgkmcnt(1)
	v_mul_f64 v[8:9], v[2:3], v[6:7]
	v_fma_f64 v[8:9], v[0:1], v[4:5], -v[8:9]
	v_mul_f64 v[0:1], v[0:1], v[6:7]
	v_fma_f64 v[10:11], v[2:3], v[4:5], v[0:1]
	v_add_co_u32 v4, s1, 0x9000, v109
	v_add_co_ci_u32_e64 v5, s1, 0, v108, s1
	ds_read_b128 v[0:3], v255 offset:8736
	global_load_dwordx4 v[4:7], v[4:5], off offset:992
	ds_write_b128 v255, v[8:11] offset:5824
	;; [unrolled: 10-line block ×8, first 2 shown]
	s_waitcnt vmcnt(0) lgkmcnt(1)
	v_mul_f64 v[8:9], v[2:3], v[6:7]
	v_fma_f64 v[8:9], v[0:1], v[4:5], -v[8:9]
	v_mul_f64 v[0:1], v[0:1], v[6:7]
	v_fma_f64 v[10:11], v[2:3], v[4:5], v[0:1]
	ds_write_b128 v255, v[8:11] offset:26208
	s_waitcnt lgkmcnt(0)
	s_barrier
	buffer_gl0_inv
	ds_read_b128 v[0:3], v255
	ds_read_b128 v[172:175], v255 offset:2912
	ds_read_b128 v[4:7], v255 offset:5824
	;; [unrolled: 1-line block ×9, first 2 shown]
	s_waitcnt lgkmcnt(0)
	s_barrier
	buffer_gl0_inv
	v_add_f64 v[28:29], v[0:1], v[4:5]
	v_add_f64 v[36:37], v[4:5], -v[8:9]
	v_add_f64 v[34:35], v[10:11], -v[14:15]
	;; [unrolled: 1-line block ×4, first 2 shown]
	v_add_f64 v[28:29], v[28:29], v[8:9]
	v_add_f64 v[36:37], v[36:37], v[38:39]
	v_add_f64 v[28:29], v[28:29], v[12:13]
	v_add_f64 v[184:185], v[28:29], v[20:21]
	v_add_f64 v[28:29], v[8:9], v[12:13]
	v_fma_f64 v[28:29], v[28:29], -0.5, v[0:1]
	v_fma_f64 v[32:33], v[30:31], s[16:17], v[28:29]
	v_fma_f64 v[28:29], v[30:31], s[6:7], v[28:29]
	;; [unrolled: 1-line block ×6, first 2 shown]
	v_add_f64 v[28:29], v[4:5], v[20:21]
	v_add_f64 v[32:33], v[8:9], -v[4:5]
	v_add_f64 v[36:37], v[12:13], -v[20:21]
	;; [unrolled: 1-line block ×4, first 2 shown]
	v_fma_f64 v[0:1], v[28:29], -0.5, v[0:1]
	v_add_f64 v[32:33], v[32:33], v[36:37]
	v_fma_f64 v[28:29], v[34:35], s[6:7], v[0:1]
	v_fma_f64 v[0:1], v[34:35], s[16:17], v[0:1]
	;; [unrolled: 1-line block ×6, first 2 shown]
	v_add_f64 v[0:1], v[2:3], v[6:7]
	v_add_f64 v[28:29], v[22:23], -v[14:15]
	v_add_f64 v[0:1], v[0:1], v[10:11]
	v_add_f64 v[0:1], v[0:1], v[14:15]
	;; [unrolled: 1-line block ×4, first 2 shown]
	v_fma_f64 v[0:1], v[0:1], -0.5, v[2:3]
	v_fma_f64 v[20:21], v[4:5], s[6:7], v[0:1]
	v_fma_f64 v[0:1], v[4:5], s[16:17], v[0:1]
	;; [unrolled: 1-line block ×3, first 2 shown]
	v_add_f64 v[20:21], v[6:7], -v[10:11]
	v_fma_f64 v[0:1], v[8:9], s[14:15], v[0:1]
	v_add_f64 v[20:21], v[20:21], v[28:29]
	v_fma_f64 v[210:211], v[20:21], s[12:13], v[0:1]
	v_add_f64 v[0:1], v[6:7], v[22:23]
	v_add_f64 v[6:7], v[10:11], -v[6:7]
	v_add_f64 v[10:11], v[14:15], -v[22:23]
	v_fma_f64 v[186:187], v[20:21], s[12:13], v[12:13]
	v_add_f64 v[12:13], v[178:179], -v[182:183]
	v_add_f64 v[14:15], v[26:27], -v[18:19]
	v_fma_f64 v[0:1], v[0:1], -0.5, v[2:3]
	v_add_f64 v[6:7], v[6:7], v[10:11]
	v_add_f64 v[10:11], v[24:25], -v[16:17]
	v_add_f64 v[12:13], v[12:13], v[14:15]
	v_fma_f64 v[2:3], v[8:9], s[16:17], v[0:1]
	v_fma_f64 v[0:1], v[8:9], s[6:7], v[0:1]
	v_add_f64 v[8:9], v[176:177], -v[180:181]
	v_fma_f64 v[2:3], v[4:5], s[2:3], v[2:3]
	v_fma_f64 v[0:1], v[4:5], s[14:15], v[0:1]
	v_add_f64 v[4:5], v[178:179], -v[26:27]
	v_add_f64 v[8:9], v[8:9], v[10:11]
	v_add_f64 v[10:11], v[16:17], -v[24:25]
	v_fma_f64 v[198:199], v[6:7], s[12:13], v[2:3]
	v_fma_f64 v[213:214], v[6:7], s[12:13], v[0:1]
	v_add_f64 v[0:1], v[172:173], v[176:177]
	v_add_f64 v[6:7], v[182:183], -v[18:19]
	v_add_f64 v[0:1], v[0:1], v[180:181]
	v_add_f64 v[0:1], v[0:1], v[16:17]
	;; [unrolled: 1-line block ×4, first 2 shown]
	v_fma_f64 v[0:1], v[0:1], -0.5, v[172:173]
	v_fma_f64 v[2:3], v[4:5], s[16:17], v[0:1]
	v_fma_f64 v[0:1], v[4:5], s[6:7], v[0:1]
	;; [unrolled: 1-line block ×6, first 2 shown]
	v_add_f64 v[0:1], v[176:177], v[24:25]
	v_add_f64 v[8:9], v[180:181], -v[176:177]
	v_mul_f64 v[20:21], v[190:191], s[2:3]
	v_fma_f64 v[0:1], v[0:1], -0.5, v[172:173]
	v_add_f64 v[8:9], v[8:9], v[10:11]
	v_add_f64 v[10:11], v[180:181], -v[16:17]
	v_add_f64 v[16:17], v[182:183], -v[178:179]
	v_add_f64 v[172:173], v[184:185], v[192:193]
	v_add_f64 v[192:193], v[184:185], -v[192:193]
	v_fma_f64 v[2:3], v[6:7], s[6:7], v[0:1]
	v_fma_f64 v[0:1], v[6:7], s[16:17], v[0:1]
	v_add_f64 v[6:7], v[176:177], -v[24:25]
	v_fma_f64 v[2:3], v[4:5], s[14:15], v[2:3]
	v_fma_f64 v[0:1], v[4:5], s[2:3], v[0:1]
	v_add_f64 v[4:5], v[174:175], v[178:179]
	v_fma_f64 v[2:3], v[8:9], s[12:13], v[2:3]
	v_fma_f64 v[0:1], v[8:9], s[12:13], v[0:1]
	v_add_f64 v[4:5], v[4:5], v[182:183]
	v_add_f64 v[4:5], v[4:5], v[18:19]
	;; [unrolled: 1-line block ×4, first 2 shown]
	v_add_f64 v[18:19], v[18:19], -v[26:27]
	v_fma_f64 v[4:5], v[4:5], -0.5, v[174:175]
	v_add_f64 v[16:17], v[16:17], v[18:19]
	v_fma_f64 v[8:9], v[6:7], s[6:7], v[4:5]
	v_fma_f64 v[4:5], v[6:7], s[16:17], v[4:5]
	;; [unrolled: 1-line block ×6, first 2 shown]
	v_add_f64 v[12:13], v[178:179], v[26:27]
	v_mul_f64 v[18:19], v[4:5], s[14:15]
	v_fma_f64 v[12:13], v[12:13], -0.5, v[174:175]
	v_add_f64 v[174:175], v[194:195], v[219:220]
	v_add_f64 v[194:195], v[194:195], -v[219:220]
	v_fma_f64 v[14:15], v[10:11], s[16:17], v[12:13]
	v_fma_f64 v[10:11], v[10:11], s[6:7], v[12:13]
	;; [unrolled: 1-line block ×4, first 2 shown]
	v_mul_f64 v[10:11], v[8:9], s[14:15]
	s_mov_b32 s15, 0xbfe9e377
	s_mov_b32 s14, s18
	v_fma_f64 v[8:9], v[8:9], s[18:19], v[20:21]
	v_mul_f64 v[4:5], v[4:5], s[14:15]
	v_fma_f64 v[18:19], v[221:222], s[14:15], v[18:19]
	v_fma_f64 v[14:15], v[16:17], s[12:13], v[14:15]
	;; [unrolled: 1-line block ×4, first 2 shown]
	v_add_f64 v[206:207], v[186:187], v[8:9]
	v_fma_f64 v[4:5], v[221:222], s[2:3], v[4:5]
	v_add_f64 v[180:181], v[208:209], v[18:19]
	v_add_f64 v[208:209], v[208:209], -v[18:19]
	v_add_f64 v[186:187], v[186:187], -v[8:9]
	v_mul_f64 v[12:13], v[14:15], s[16:17]
	v_mul_f64 v[16:17], v[6:7], s[16:17]
	s_mov_b32 s17, 0xbfd3c6ef
	s_mov_b32 s16, s12
	v_mul_f64 v[14:15], v[14:15], s[12:13]
	v_mul_f64 v[6:7], v[6:7], s[16:17]
	v_add_f64 v[204:205], v[196:197], v[10:11]
	v_add_f64 v[182:183], v[210:211], v[4:5]
	v_add_f64 v[184:185], v[196:197], -v[10:11]
	v_add_f64 v[210:211], v[210:211], -v[4:5]
	v_fma_f64 v[12:13], v[2:3], s[12:13], v[12:13]
	v_fma_f64 v[16:17], v[0:1], s[16:17], v[16:17]
	;; [unrolled: 1-line block ×4, first 2 shown]
	v_add_f64 v[200:201], v[215:216], v[12:13]
	v_add_f64 v[188:189], v[217:218], v[16:17]
	v_add_f64 v[176:177], v[215:216], -v[12:13]
	v_add_f64 v[196:197], v[217:218], -v[16:17]
	v_add_f64 v[202:203], v[198:199], v[2:3]
	v_add_f64 v[190:191], v[213:214], v[0:1]
	v_add_f64 v[178:179], v[198:199], -v[2:3]
	v_add_f64 v[198:199], v[213:214], -v[0:1]
	ds_write_b128 v212, v[172:175]
	ds_write_b128 v212, v[204:207] offset:16
	ds_write_b128 v212, v[200:203] offset:32
	ds_write_b128 v212, v[188:191] offset:48
	ds_write_b128 v212, v[180:183] offset:64
	ds_write_b128 v212, v[192:195] offset:80
	ds_write_b128 v212, v[184:187] offset:96
	ds_write_b128 v212, v[176:179] offset:112
	ds_write_b128 v212, v[196:199] offset:128
	ds_write_b128 v212, v[208:211] offset:144
	s_waitcnt lgkmcnt(0)
	s_barrier
	buffer_gl0_inv
	s_and_saveexec_b32 s1, vcc_lo
	s_cbranch_execz .LBB0_11
; %bb.10:
	ds_read_b128 v[172:175], v255
	ds_read_b128 v[204:207], v255 offset:2240
	ds_read_b128 v[200:203], v255 offset:4480
	;; [unrolled: 1-line block ×12, first 2 shown]
.LBB0_11:
	s_or_b32 exec_lo, exec_lo, s1
	s_waitcnt lgkmcnt(11)
	v_mul_f64 v[0:1], v[146:147], v[204:205]
	s_waitcnt lgkmcnt(0)
	v_mul_f64 v[2:3], v[158:159], v[168:169]
	s_clause 0x3
	buffer_load_dword v16, off, s[48:51], 0 offset:260
	buffer_load_dword v17, off, s[48:51], 0 offset:264
	;; [unrolled: 1-line block ×4, first 2 shown]
	v_mul_f64 v[4:5], v[146:147], v[206:207]
	v_mul_f64 v[6:7], v[154:155], v[200:201]
	v_mul_f64 v[8:9], v[158:159], v[170:171]
	v_mul_f64 v[10:11], v[150:151], v[164:165]
	v_mul_f64 v[14:15], v[150:151], v[166:167]
	v_mul_f64 v[12:13], v[138:139], v[160:161]
	s_mov_b32 s6, 0x4267c47c
	s_mov_b32 s2, 0xe00740e9
	;; [unrolled: 1-line block ×13, first 2 shown]
	v_fma_f64 v[22:23], v[144:145], v[206:207], -v[0:1]
	v_fma_f64 v[20:21], v[156:157], v[170:171], -v[2:3]
	v_mul_f64 v[2:3], v[142:143], v[188:189]
	v_fma_f64 v[40:41], v[144:145], v[204:205], v[4:5]
	v_fma_f64 v[38:39], v[152:153], v[202:203], -v[6:7]
	v_fma_f64 v[30:31], v[156:157], v[168:169], v[8:9]
	v_fma_f64 v[32:33], v[148:149], v[166:167], -v[10:11]
	v_fma_f64 v[34:35], v[148:149], v[164:165], v[14:15]
	v_mul_f64 v[0:1], v[154:155], v[202:203]
	v_mul_f64 v[8:9], v[138:139], v[162:163]
	;; [unrolled: 1-line block ×3, first 2 shown]
	v_fma_f64 v[36:37], v[136:137], v[162:163], -v[12:13]
	s_mov_b32 s19, 0xbfedeba7
	s_mov_b32 s24, 0xb2365da1
	;; [unrolled: 1-line block ×11, first 2 shown]
	v_add_f64 v[206:207], v[22:23], -v[20:21]
	buffer_store_dword v20, off, s[48:51], 0 offset:372 ; 4-byte Folded Spill
	buffer_store_dword v21, off, s[48:51], 0 offset:376 ; 4-byte Folded Spill
	buffer_store_dword v22, off, s[48:51], 0 offset:396 ; 4-byte Folded Spill
	buffer_store_dword v23, off, s[48:51], 0 offset:400 ; 4-byte Folded Spill
	s_clause 0x3
	buffer_load_dword v26, off, s[48:51], 0 offset:276
	buffer_load_dword v27, off, s[48:51], 0 offset:280
	;; [unrolled: 1-line block ×4, first 2 shown]
	v_fma_f64 v[42:43], v[140:141], v[190:191], -v[2:3]
	v_add_f64 v[148:149], v[40:41], v[30:31]
	v_add_f64 v[219:220], v[38:39], -v[32:33]
	s_mov_b32 s39, 0x3fe5384d
	v_fma_f64 v[44:45], v[152:153], v[200:201], v[0:1]
	s_mov_b32 s38, s22
	v_fma_f64 v[46:47], v[140:141], v[188:189], v[4:5]
	s_mov_b32 s37, 0x3fefc445
	s_mov_b32 s36, s16
	;; [unrolled: 1-line block ×10, first 2 shown]
	v_mul_f64 v[50:51], v[206:207], s[6:7]
	v_mul_f64 v[152:153], v[206:207], s[16:17]
	;; [unrolled: 1-line block ×3, first 2 shown]
	v_add_f64 v[245:246], v[42:43], -v[36:37]
	v_mul_f64 v[225:226], v[206:207], s[28:29]
	v_mul_f64 v[188:189], v[219:220], s[18:19]
	;; [unrolled: 1-line block ×3, first 2 shown]
	v_add_f64 v[140:141], v[44:45], v[34:35]
	v_mul_f64 v[150:151], v[245:246], s[28:29]
	v_mul_f64 v[162:163], v[245:246], s[12:13]
	s_waitcnt vmcnt(4)
	v_mul_f64 v[6:7], v[18:19], v[180:181]
	v_mul_f64 v[2:3], v[18:19], v[182:183]
	v_fma_f64 v[48:49], v[16:17], v[182:183], -v[6:7]
	v_fma_f64 v[200:201], v[16:17], v[180:181], v[2:3]
	v_add_f64 v[213:214], v[22:23], v[20:21]
	s_clause 0x7
	buffer_load_dword v18, off, s[48:51], 0 offset:228
	buffer_load_dword v19, off, s[48:51], 0 offset:232
	;; [unrolled: 1-line block ×8, first 2 shown]
	buffer_store_dword v30, off, s[48:51], 0 offset:380 ; 4-byte Folded Spill
	buffer_store_dword v31, off, s[48:51], 0 offset:384 ; 4-byte Folded Spill
	;; [unrolled: 1-line block ×8, first 2 shown]
	s_waitcnt vmcnt(8)
	v_mul_f64 v[0:1], v[28:29], v[208:209]
	v_mul_f64 v[14:15], v[28:29], v[210:211]
	v_fma_f64 v[28:29], v[136:137], v[160:161], v[8:9]
	v_mul_f64 v[8:9], v[219:220], s[12:13]
	buffer_store_dword v50, off, s[48:51], 0 offset:444 ; 4-byte Folded Spill
	buffer_store_dword v51, off, s[48:51], 0 offset:448 ; 4-byte Folded Spill
	;; [unrolled: 1-line block ×10, first 2 shown]
	v_mul_f64 v[136:137], v[219:220], s[38:39]
	v_mul_f64 v[132:133], v[213:214], s[20:21]
	;; [unrolled: 1-line block ×4, first 2 shown]
	v_fma_f64 v[166:167], v[26:27], v[210:211], -v[0:1]
	v_add_f64 v[180:181], v[46:47], v[28:29]
	s_waitcnt vmcnt(4)
	v_mul_f64 v[10:11], v[20:21], v[192:193]
	s_waitcnt vmcnt(0)
	v_mul_f64 v[12:13], v[24:25], v[196:197]
	v_add_f64 v[106:107], v[38:39], v[32:33]
	v_mul_f64 v[38:39], v[213:214], s[2:3]
	v_mul_f64 v[0:1], v[20:21], v[194:195]
	;; [unrolled: 1-line block ×3, first 2 shown]
	v_add_f64 v[182:183], v[40:41], -v[30:31]
	v_mul_f64 v[6:7], v[24:25], v[198:199]
	v_fma_f64 v[30:31], v[26:27], v[208:209], v[14:15]
	v_fma_f64 v[4:5], v[148:149], s[2:3], -v[50:51]
	v_add_f64 v[204:205], v[44:45], -v[34:35]
	v_add_f64 v[104:105], v[42:43], v[36:37]
	v_mul_f64 v[34:35], v[245:246], s[34:35]
	buffer_store_dword v38, off, s[48:51], 0 offset:476 ; 4-byte Folded Spill
	buffer_store_dword v39, off, s[48:51], 0 offset:480 ; 4-byte Folded Spill
	;; [unrolled: 1-line block ×4, first 2 shown]
	v_mul_f64 v[32:33], v[106:107], s[14:15]
	v_fma_f64 v[168:169], v[22:23], v[198:199], -v[12:13]
	s_clause 0x3
	buffer_load_dword v24, off, s[48:51], 0 offset:212
	buffer_load_dword v25, off, s[48:51], 0 offset:216
	;; [unrolled: 1-line block ×4, first 2 shown]
	buffer_store_dword v28, off, s[48:51], 0 offset:228 ; 4-byte Folded Spill
	buffer_store_dword v29, off, s[48:51], 0 offset:232 ; 4-byte Folded Spill
	;; [unrolled: 1-line block ×4, first 2 shown]
	v_fma_f64 v[208:209], v[18:19], v[192:193], v[0:1]
	v_fma_f64 v[192:193], v[22:23], v[196:197], v[6:7]
	v_fma_f64 v[194:195], v[18:19], v[194:195], -v[10:11]
	v_add_f64 v[4:5], v[172:173], v[4:5]
	v_add_f64 v[196:197], v[200:201], v[30:31]
	v_mul_f64 v[231:232], v[104:105], s[20:21]
	v_mul_f64 v[202:203], v[106:107], s[24:25]
	;; [unrolled: 1-line block ×7, first 2 shown]
	v_fma_f64 v[66:67], v[182:183], s[28:29], v[60:61]
	v_add_f64 v[134:135], v[194:195], -v[168:169]
	v_fma_f64 v[50:51], v[204:205], s[36:37], v[164:165]
	v_add_f64 v[66:67], v[174:175], v[66:67]
	v_mul_f64 v[249:250], v[134:135], s[36:37]
	v_mul_f64 v[142:143], v[134:135], s[12:13]
	;; [unrolled: 1-line block ×3, first 2 shown]
	v_fma_f64 v[2:3], v[182:183], s[6:7], v[38:39]
	v_fma_f64 v[12:13], v[140:141], s[14:15], -v[8:9]
	v_add_f64 v[8:9], v[48:49], -v[166:167]
	buffer_store_dword v48, off, s[48:51], 0 offset:436 ; 4-byte Folded Spill
	buffer_store_dword v49, off, s[48:51], 0 offset:440 ; 4-byte Folded Spill
	;; [unrolled: 1-line block ×6, first 2 shown]
	s_waitcnt vmcnt(0)
	v_mul_f64 v[14:15], v[26:27], v[186:187]
	v_mul_f64 v[16:17], v[26:27], v[184:185]
	v_add_f64 v[210:211], v[46:47], -v[28:29]
	v_add_f64 v[2:3], v[174:175], v[2:3]
	v_add_f64 v[4:5], v[12:13], v[4:5]
	v_mul_f64 v[26:27], v[8:9], s[18:19]
	v_mul_f64 v[253:254], v[8:9], s[38:39]
	;; [unrolled: 1-line block ×4, first 2 shown]
	v_fma_f64 v[217:218], v[24:25], v[184:185], v[14:15]
	v_fma_f64 v[229:230], v[24:25], v[186:187], -v[16:17]
	v_add_f64 v[186:187], v[194:195], v[168:169]
	v_mul_f64 v[14:15], v[134:135], s[22:23]
	v_add_f64 v[184:185], v[208:209], v[192:193]
	v_mul_f64 v[24:25], v[206:207], s[12:13]
	v_mul_f64 v[170:171], v[8:9], s[44:45]
	;; [unrolled: 1-line block ×6, first 2 shown]
	v_add_f64 v[10:11], v[48:49], v[166:167]
	v_fma_f64 v[0:1], v[204:205], s[12:13], v[32:33]
	v_fma_f64 v[6:7], v[180:181], s[20:21], -v[20:21]
	s_clause 0x3
	buffer_load_dword v20, off, s[48:51], 0 offset:196
	buffer_load_dword v21, off, s[48:51], 0 offset:200
	;; [unrolled: 1-line block ×4, first 2 shown]
	buffer_store_dword v30, off, s[48:51], 0 offset:212 ; 4-byte Folded Spill
	buffer_store_dword v31, off, s[48:51], 0 offset:216 ; 4-byte Folded Spill
	;; [unrolled: 1-line block ×4, first 2 shown]
	v_mul_f64 v[48:49], v[213:214], s[24:25]
	v_mul_f64 v[146:147], v[10:11], s[26:27]
	v_add_f64 v[0:1], v[0:1], v[2:3]
	v_fma_f64 v[2:3], v[210:211], s[16:17], v[231:232]
	v_add_f64 v[4:5], v[6:7], v[4:5]
	v_mul_f64 v[32:33], v[10:11], s[20:21]
	v_mul_f64 v[156:157], v[10:11], s[30:31]
	v_add_f64 v[0:1], v[2:3], v[0:1]
	v_add_f64 v[223:224], v[200:201], -v[30:31]
	s_waitcnt vmcnt(0)
	v_mul_f64 v[12:13], v[22:23], v[176:177]
	v_mul_f64 v[18:19], v[22:23], v[178:179]
	;; [unrolled: 1-line block ×3, first 2 shown]
	v_fma_f64 v[6:7], v[196:197], s[24:25], -v[26:27]
	v_mul_f64 v[30:31], v[213:214], s[14:15]
	v_mul_f64 v[213:214], v[104:105], s[26:27]
	buffer_store_dword v22, off, s[48:51], 0 offset:500 ; 4-byte Folded Spill
	buffer_store_dword v23, off, s[48:51], 0 offset:504 ; 4-byte Folded Spill
	;; [unrolled: 1-line block ×6, first 2 shown]
	v_fma_f64 v[233:234], v[20:21], v[178:179], -v[12:13]
	v_fma_f64 v[227:228], v[20:21], v[176:177], v[18:19]
	v_add_f64 v[178:179], v[208:209], -v[192:193]
	v_add_f64 v[4:5], v[6:7], v[4:5]
	v_mul_f64 v[176:177], v[206:207], s[18:19]
	v_mul_f64 v[206:207], v[245:246], s[22:23]
	s_waitcnt_vscnt null, 0x0
	s_barrier
	buffer_gl0_inv
	v_add_f64 v[54:55], v[229:230], -v[233:234]
	v_add_f64 v[235:236], v[217:218], v[227:228]
	v_add_f64 v[64:65], v[229:230], v[233:234]
	v_add_f64 v[241:242], v[217:218], -v[227:228]
	v_mul_f64 v[237:238], v[54:55], s[28:29]
	v_mul_f64 v[243:244], v[54:55], s[34:35]
	;; [unrolled: 1-line block ×6, first 2 shown]
	v_fma_f64 v[12:13], v[223:224], s[18:19], v[22:23]
	v_fma_f64 v[2:3], v[184:185], s[26:27], -v[14:15]
	v_fma_f64 v[6:7], v[178:179], s[22:23], v[16:17]
	v_mul_f64 v[16:17], v[219:220], s[28:29]
	v_mul_f64 v[22:23], v[106:107], s[30:31]
	;; [unrolled: 1-line block ×4, first 2 shown]
	v_fma_f64 v[104:105], v[210:211], s[22:23], v[213:214]
	v_add_f64 v[0:1], v[12:13], v[0:1]
	v_add_f64 v[2:3], v[2:3], v[4:5]
	v_fma_f64 v[4:5], v[235:236], s[30:31], -v[237:238]
	v_mul_f64 v[12:13], v[245:246], s[42:43]
	v_add_f64 v[0:1], v[6:7], v[0:1]
	v_add_f64 v[40:41], v[4:5], v[2:3]
	v_fma_f64 v[2:3], v[241:242], s[28:29], v[239:240]
	v_fma_f64 v[4:5], v[204:205], s[18:19], v[202:203]
	v_add_f64 v[42:43], v[2:3], v[0:1]
	v_fma_f64 v[0:1], v[148:149], s[14:15], -v[24:25]
	v_fma_f64 v[2:3], v[140:141], s[24:25], -v[188:189]
	v_add_f64 v[0:1], v[172:173], v[0:1]
	v_add_f64 v[0:1], v[2:3], v[0:1]
	v_fma_f64 v[2:3], v[182:183], s[12:13], v[30:31]
	v_add_f64 v[2:3], v[174:175], v[2:3]
	v_add_f64 v[2:3], v[4:5], v[2:3]
	v_fma_f64 v[4:5], v[180:181], s[30:31], -v[150:151]
	v_add_f64 v[0:1], v[4:5], v[0:1]
	v_fma_f64 v[4:5], v[210:211], s[28:29], v[138:139]
	v_add_f64 v[2:3], v[4:5], v[2:3]
	v_fma_f64 v[4:5], v[196:197], s[26:27], -v[253:254]
	v_add_f64 v[0:1], v[4:5], v[0:1]
	v_fma_f64 v[4:5], v[223:224], s[38:39], v[146:147]
	;; [unrolled: 4-line block ×4, first 2 shown]
	v_fma_f64 v[4:5], v[204:205], s[28:29], v[22:23]
	v_add_f64 v[46:47], v[0:1], v[2:3]
	v_fma_f64 v[0:1], v[148:149], s[20:21], -v[152:153]
	v_fma_f64 v[2:3], v[140:141], s[30:31], -v[16:17]
	v_add_f64 v[0:1], v[172:173], v[0:1]
	v_add_f64 v[0:1], v[2:3], v[0:1]
	v_fma_f64 v[2:3], v[182:183], s[16:17], v[132:133]
	v_add_f64 v[2:3], v[174:175], v[2:3]
	v_add_f64 v[2:3], v[4:5], v[2:3]
	v_fma_f64 v[4:5], v[180:181], s[24:25], -v[12:13]
	v_add_f64 v[0:1], v[4:5], v[0:1]
	v_fma_f64 v[4:5], v[210:211], s[42:43], v[14:15]
	v_add_f64 v[2:3], v[4:5], v[2:3]
	v_fma_f64 v[4:5], v[196:197], s[2:3], -v[198:199]
	v_add_f64 v[0:1], v[4:5], v[0:1]
	v_mul_f64 v[4:5], v[10:11], s[2:3]
	v_fma_f64 v[6:7], v[223:224], s[34:35], v[4:5]
	v_add_f64 v[2:3], v[6:7], v[2:3]
	v_fma_f64 v[6:7], v[184:185], s[14:15], -v[142:143]
	v_add_f64 v[6:7], v[6:7], v[0:1]
	v_mul_f64 v[0:1], v[186:187], s[14:15]
	v_fma_f64 v[18:19], v[178:179], s[12:13], v[0:1]
	v_add_f64 v[2:3], v[18:19], v[2:3]
	v_fma_f64 v[18:19], v[235:236], s[26:27], -v[190:191]
	v_add_f64 v[72:73], v[18:19], v[6:7]
	v_fma_f64 v[6:7], v[241:242], s[22:23], v[144:145]
	v_fma_f64 v[18:19], v[204:205], s[38:39], v[154:155]
	v_add_f64 v[74:75], v[6:7], v[2:3]
	v_fma_f64 v[2:3], v[148:149], s[24:25], -v[176:177]
	v_fma_f64 v[6:7], v[140:141], s[26:27], -v[136:137]
	v_add_f64 v[2:3], v[172:173], v[2:3]
	v_add_f64 v[2:3], v[6:7], v[2:3]
	v_fma_f64 v[6:7], v[182:183], s[18:19], v[48:49]
	v_add_f64 v[6:7], v[174:175], v[6:7]
	v_add_f64 v[6:7], v[18:19], v[6:7]
	v_fma_f64 v[18:19], v[180:181], s[2:3], -v[34:35]
	v_add_f64 v[2:3], v[18:19], v[2:3]
	v_fma_f64 v[18:19], v[210:211], s[34:35], v[36:37]
	v_add_f64 v[6:7], v[18:19], v[6:7]
	v_fma_f64 v[18:19], v[196:197], s[20:21], -v[28:29]
	v_add_f64 v[2:3], v[18:19], v[2:3]
	v_fma_f64 v[18:19], v[223:224], s[16:17], v[32:33]
	v_add_f64 v[6:7], v[18:19], v[6:7]
	v_mul_f64 v[18:19], v[134:135], s[44:45]
	v_fma_f64 v[20:21], v[184:185], s[30:31], -v[18:19]
	v_add_f64 v[26:27], v[20:21], v[2:3]
	v_mul_f64 v[20:21], v[186:187], s[30:31]
	v_fma_f64 v[2:3], v[178:179], s[44:45], v[20:21]
	v_add_f64 v[38:39], v[2:3], v[6:7]
	v_mul_f64 v[2:3], v[54:55], s[40:41]
	v_fma_f64 v[6:7], v[235:236], s[14:15], -v[2:3]
	v_add_f64 v[76:77], v[6:7], v[26:27]
	v_mul_f64 v[6:7], v[64:65], s[14:15]
	v_fma_f64 v[26:27], v[241:242], s[40:41], v[6:7]
	v_add_f64 v[78:79], v[26:27], v[38:39]
	v_fma_f64 v[26:27], v[148:149], s[26:27], -v[56:57]
	v_fma_f64 v[38:39], v[140:141], s[20:21], -v[221:222]
	v_add_f64 v[26:27], v[172:173], v[26:27]
	v_add_f64 v[26:27], v[38:39], v[26:27]
	v_fma_f64 v[38:39], v[182:183], s[22:23], v[58:59]
	v_add_f64 v[38:39], v[174:175], v[38:39]
	v_add_f64 v[38:39], v[50:51], v[38:39]
	v_fma_f64 v[50:51], v[180:181], s[14:15], -v[162:163]
	v_add_f64 v[26:27], v[50:51], v[26:27]
	v_fma_f64 v[50:51], v[210:211], s[12:13], v[160:161]
	v_add_f64 v[38:39], v[50:51], v[38:39]
	v_fma_f64 v[50:51], v[196:197], s[30:31], -v[170:171]
	v_add_f64 v[26:27], v[50:51], v[26:27]
	v_fma_f64 v[50:51], v[223:224], s[44:45], v[156:157]
	;; [unrolled: 4-line block ×3, first 2 shown]
	v_add_f64 v[52:53], v[26:27], v[38:39]
	v_mul_f64 v[26:27], v[54:55], s[18:19]
	v_mul_f64 v[54:55], v[54:55], s[36:37]
	v_fma_f64 v[38:39], v[235:236], s[24:25], -v[26:27]
	v_add_f64 v[108:109], v[38:39], v[50:51]
	v_mul_f64 v[38:39], v[64:65], s[24:25]
	v_fma_f64 v[50:51], v[241:242], s[18:19], v[38:39]
	v_add_f64 v[110:111], v[50:51], v[52:53]
	v_fma_f64 v[50:51], v[148:149], s[30:31], -v[225:226]
	v_fma_f64 v[52:53], v[140:141], s[2:3], -v[219:220]
	v_add_f64 v[50:51], v[172:173], v[50:51]
	v_add_f64 v[50:51], v[52:53], v[50:51]
	v_mul_f64 v[52:53], v[106:107], s[2:3]
	v_fma_f64 v[106:107], v[204:205], s[34:35], v[52:53]
	v_add_f64 v[66:67], v[106:107], v[66:67]
	v_fma_f64 v[106:107], v[180:181], s[26:27], -v[206:207]
	v_add_f64 v[66:67], v[104:105], v[66:67]
	v_add_f64 v[50:51], v[106:107], v[50:51]
	v_fma_f64 v[104:105], v[196:197], s[14:15], -v[8:9]
	v_add_f64 v[104:105], v[104:105], v[50:51]
	v_mul_f64 v[50:51], v[10:11], s[14:15]
	v_fma_f64 v[10:11], v[223:224], s[40:41], v[50:51]
	v_add_f64 v[66:67], v[10:11], v[66:67]
	v_mul_f64 v[10:11], v[134:135], s[18:19]
	v_mul_f64 v[134:135], v[186:187], s[24:25]
	;; [unrolled: 1-line block ×3, first 2 shown]
	v_fma_f64 v[64:65], v[235:236], s[20:21], -v[54:55]
	v_fma_f64 v[106:107], v[184:185], s[24:25], -v[10:11]
	v_add_f64 v[104:105], v[106:107], v[104:105]
	v_fma_f64 v[106:107], v[178:179], s[18:19], v[134:135]
	v_add_f64 v[104:105], v[64:65], v[104:105]
	v_add_f64 v[66:67], v[106:107], v[66:67]
	v_fma_f64 v[64:65], v[241:242], s[36:37], v[186:187]
	v_add_f64 v[106:107], v[64:65], v[66:67]
	s_and_saveexec_b32 s1, vcc_lo
	s_cbranch_execz .LBB0_13
; %bb.12:
	v_mul_f64 v[66:67], v[182:183], s[22:23]
	v_mul_f64 v[64:65], v[182:183], s[28:29]
	v_add_f64 v[58:59], v[58:59], -v[66:67]
	v_mul_f64 v[66:67], v[148:149], s[26:27]
	v_add_f64 v[60:61], v[60:61], -v[64:65]
	v_mul_f64 v[64:65], v[148:149], s[30:31]
	v_add_f64 v[58:59], v[174:175], v[58:59]
	v_add_f64 v[56:57], v[66:67], v[56:57]
	v_mul_f64 v[66:67], v[182:183], s[18:19]
	v_add_f64 v[64:65], v[64:65], v[225:226]
	v_add_f64 v[60:61], v[174:175], v[60:61]
	;; [unrolled: 1-line block ×3, first 2 shown]
	v_add_f64 v[48:49], v[48:49], -v[66:67]
	v_mul_f64 v[66:67], v[148:149], s[24:25]
	v_add_f64 v[64:65], v[172:173], v[64:65]
	v_add_f64 v[48:49], v[174:175], v[48:49]
	;; [unrolled: 1-line block ×3, first 2 shown]
	v_mul_f64 v[176:177], v[182:183], s[16:17]
	v_add_f64 v[66:67], v[172:173], v[66:67]
	v_add_f64 v[132:133], v[132:133], -v[176:177]
	v_mul_f64 v[176:177], v[148:149], s[20:21]
	v_add_f64 v[132:133], v[174:175], v[132:133]
	v_add_f64 v[152:153], v[176:177], v[152:153]
	v_mul_f64 v[176:177], v[182:183], s[12:13]
	v_add_f64 v[152:153], v[172:173], v[152:153]
	v_add_f64 v[30:31], v[30:31], -v[176:177]
	v_mul_f64 v[176:177], v[148:149], s[14:15]
	v_mul_f64 v[148:149], v[148:149], s[2:3]
	v_add_f64 v[30:31], v[174:175], v[30:31]
	v_add_f64 v[24:25], v[176:177], v[24:25]
	v_mul_f64 v[176:177], v[182:183], s[6:7]
	s_clause 0x1
	buffer_load_dword v182, off, s[48:51], 0 offset:476
	buffer_load_dword v183, off, s[48:51], 0 offset:480
	v_add_f64 v[24:25], v[172:173], v[24:25]
	s_waitcnt vmcnt(0)
	v_add_f64 v[176:177], v[182:183], -v[176:177]
	s_clause 0x1
	buffer_load_dword v182, off, s[48:51], 0 offset:444
	buffer_load_dword v183, off, s[48:51], 0 offset:448
	s_waitcnt vmcnt(0)
	v_add_f64 v[148:149], v[148:149], v[182:183]
	s_clause 0x3
	buffer_load_dword v182, off, s[48:51], 0 offset:396
	buffer_load_dword v183, off, s[48:51], 0 offset:400
	;; [unrolled: 1-line block ×4, first 2 shown]
	v_add_f64 v[148:149], v[172:173], v[148:149]
	s_waitcnt vmcnt(2)
	v_add_f64 v[182:183], v[174:175], v[182:183]
	s_waitcnt vmcnt(0)
	v_add_f64 v[225:226], v[172:173], v[225:226]
	s_clause 0x1
	buffer_load_dword v172, off, s[48:51], 0 offset:404
	buffer_load_dword v173, off, s[48:51], 0 offset:408
	v_add_f64 v[174:175], v[174:175], v[176:177]
	s_clause 0x1
	buffer_load_dword v176, off, s[48:51], 0 offset:428
	buffer_load_dword v177, off, s[48:51], 0 offset:432
	s_waitcnt vmcnt(2)
	v_add_f64 v[172:173], v[182:183], v[172:173]
	v_mul_f64 v[182:183], v[204:205], s[34:35]
	s_waitcnt vmcnt(0)
	v_add_f64 v[176:177], v[225:226], v[176:177]
	v_add_f64 v[52:53], v[52:53], -v[182:183]
	v_mul_f64 v[182:183], v[140:141], s[2:3]
	v_add_f64 v[52:53], v[52:53], v[60:61]
	v_add_f64 v[182:183], v[182:183], v[219:220]
	s_clause 0x1
	buffer_load_dword v219, off, s[48:51], 0 offset:420
	buffer_load_dword v220, off, s[48:51], 0 offset:424
	v_add_f64 v[60:61], v[182:183], v[64:65]
	v_mul_f64 v[182:183], v[178:179], s[44:45]
	v_add_f64 v[20:21], v[20:21], -v[182:183]
	v_mul_f64 v[182:183], v[184:185], s[30:31]
	v_add_f64 v[18:19], v[182:183], v[18:19]
	v_mul_f64 v[182:183], v[178:179], s[12:13]
	v_add_f64 v[0:1], v[0:1], -v[182:183]
	s_waitcnt vmcnt(0)
	v_add_f64 v[172:173], v[172:173], v[219:220]
	v_mul_f64 v[219:220], v[241:242], s[36:37]
	v_add_f64 v[186:187], v[186:187], -v[219:220]
	v_mul_f64 v[219:220], v[210:211], s[22:23]
	v_add_f64 v[212:213], v[213:214], -v[219:220]
	v_mul_f64 v[219:220], v[180:181], s[26:27]
	v_add_f64 v[52:53], v[212:213], v[52:53]
	v_add_f64 v[206:207], v[219:220], v[206:207]
	v_mul_f64 v[219:220], v[178:179], s[18:19]
	v_add_f64 v[60:61], v[206:207], v[60:61]
	v_add_f64 v[134:135], v[134:135], -v[219:220]
	v_mul_f64 v[219:220], v[223:224], s[40:41]
	v_add_f64 v[50:51], v[50:51], -v[219:220]
	v_mul_f64 v[219:220], v[235:236], s[20:21]
	v_add_f64 v[50:51], v[50:51], v[52:53]
	v_add_f64 v[54:55], v[219:220], v[54:55]
	v_mul_f64 v[219:220], v[184:185], s[24:25]
	v_add_f64 v[50:51], v[134:135], v[50:51]
	v_mul_f64 v[134:135], v[241:242], s[28:29]
	;; [unrolled: 2-line block ×4, first 2 shown]
	v_add_f64 v[8:9], v[8:9], v[60:61]
	v_add_f64 v[160:161], v[160:161], -v[219:220]
	v_mul_f64 v[219:220], v[204:205], s[36:37]
	v_mul_f64 v[60:61], v[184:185], s[26:27]
	v_add_f64 v[8:9], v[10:11], v[8:9]
	v_add_f64 v[164:165], v[164:165], -v[219:220]
	s_clause 0x1
	buffer_load_dword v219, off, s[48:51], 0 offset:244
	buffer_load_dword v220, off, s[48:51], 0 offset:248
	v_add_f64 v[58:59], v[164:165], v[58:59]
	v_add_f64 v[58:59], v[160:161], v[58:59]
	s_waitcnt vmcnt(0)
	v_add_f64 v[176:177], v[176:177], v[219:220]
	s_clause 0x1
	buffer_load_dword v219, off, s[48:51], 0 offset:436
	buffer_load_dword v220, off, s[48:51], 0 offset:440
	s_waitcnt vmcnt(0)
	v_add_f64 v[172:173], v[172:173], v[219:220]
	v_mul_f64 v[219:220], v[180:181], s[14:15]
	v_add_f64 v[172:173], v[172:173], v[194:195]
	v_add_f64 v[162:163], v[219:220], v[162:163]
	v_mul_f64 v[219:220], v[140:141], s[20:21]
	v_add_f64 v[172:173], v[172:173], v[229:230]
	;; [unrolled: 3-line block ×3, first 2 shown]
	v_add_f64 v[154:155], v[154:155], -v[221:222]
	v_mul_f64 v[221:222], v[140:141], s[26:27]
	v_add_f64 v[48:49], v[154:155], v[48:49]
	v_add_f64 v[136:137], v[221:222], v[136:137]
	v_mul_f64 v[221:222], v[204:205], s[28:29]
	v_mul_f64 v[154:155], v[178:179], s[22:23]
	v_add_f64 v[66:67], v[136:137], v[66:67]
	v_add_f64 v[22:23], v[22:23], -v[221:222]
	v_mul_f64 v[221:222], v[204:205], s[18:19]
	v_mul_f64 v[204:205], v[204:205], s[12:13]
	v_add_f64 v[22:23], v[22:23], v[132:133]
	v_add_f64 v[202:203], v[202:203], -v[221:222]
	v_mul_f64 v[221:222], v[140:141], s[24:25]
	v_add_f64 v[30:31], v[202:203], v[30:31]
	v_add_f64 v[188:189], v[221:222], v[188:189]
	s_clause 0x5
	buffer_load_dword v221, off, s[48:51], 0 offset:468
	buffer_load_dword v222, off, s[48:51], 0 offset:472
	;; [unrolled: 1-line block ×6, first 2 shown]
	v_add_f64 v[24:25], v[188:189], v[24:25]
	s_waitcnt vmcnt(4)
	v_add_f64 v[204:205], v[221:222], -v[204:205]
	v_mul_f64 v[221:222], v[140:141], s[14:15]
	v_mul_f64 v[140:141], v[140:141], s[30:31]
	v_add_f64 v[132:133], v[204:205], v[174:175]
	s_waitcnt vmcnt(2)
	v_add_f64 v[221:222], v[221:222], v[225:226]
	v_add_f64 v[16:17], v[140:141], v[16:17]
	;; [unrolled: 1-line block ×3, first 2 shown]
	v_mul_f64 v[200:201], v[223:224], s[18:19]
	v_mul_f64 v[176:177], v[210:211], s[34:35]
	v_add_f64 v[148:149], v[221:222], v[148:149]
	v_add_f64 v[16:17], v[16:17], v[152:153]
	;; [unrolled: 1-line block ×3, first 2 shown]
	s_clause 0x1
	buffer_load_dword v208, off, s[48:51], 0 offset:500
	buffer_load_dword v209, off, s[48:51], 0 offset:504
	v_add_f64 v[36:37], v[36:37], -v[176:177]
	v_mul_f64 v[176:177], v[180:181], s[2:3]
	v_mul_f64 v[152:153], v[184:185], s[20:21]
	v_add_f64 v[64:65], v[140:141], v[217:218]
	v_add_f64 v[140:141], v[172:173], v[233:234]
	;; [unrolled: 1-line block ×4, first 2 shown]
	v_mul_f64 v[176:177], v[210:211], s[42:43]
	v_add_f64 v[152:153], v[152:153], v[249:250]
	v_mul_f64 v[172:173], v[184:185], s[2:3]
	v_add_f64 v[64:65], v[64:65], v[227:228]
	v_add_f64 v[136:137], v[140:141], v[168:169]
	v_mul_f64 v[140:141], v[184:185], s[14:15]
	v_add_f64 v[14:15], v[14:15], -v[176:177]
	v_mul_f64 v[176:177], v[180:181], s[24:25]
	v_add_f64 v[172:173], v[172:173], v[215:216]
	v_add_f64 v[52:53], v[64:65], v[192:193]
	;; [unrolled: 1-line block ×3, first 2 shown]
	v_mul_f64 v[142:143], v[178:179], s[36:37]
	v_add_f64 v[14:15], v[14:15], v[22:23]
	v_add_f64 v[12:13], v[176:177], v[12:13]
	v_mul_f64 v[176:177], v[210:211], s[28:29]
	v_add_f64 v[142:143], v[251:252], -v[142:143]
	v_add_f64 v[12:13], v[12:13], v[16:17]
	v_add_f64 v[138:139], v[138:139], -v[176:177]
	v_mul_f64 v[176:177], v[180:181], s[30:31]
	v_mul_f64 v[180:181], v[180:181], s[20:21]
	v_add_f64 v[16:17], v[34:35], v[66:67]
	v_add_f64 v[34:35], v[162:163], v[56:57]
	v_add_f64 v[56:57], v[136:137], v[166:167]
	v_mul_f64 v[66:67], v[241:242], s[34:35]
	v_mul_f64 v[136:137], v[235:236], s[30:31]
	v_add_f64 v[22:23], v[138:139], v[30:31]
	v_add_f64 v[150:151], v[176:177], v[150:151]
	s_waitcnt vmcnt(2)
	v_add_f64 v[180:181], v[180:181], v[194:195]
	v_mul_f64 v[194:195], v[223:224], s[44:45]
	v_mul_f64 v[176:177], v[210:211], s[16:17]
	v_mov_b32_e32 v138, 0x82
	v_add_f64 v[24:25], v[150:151], v[24:25]
	v_add_f64 v[48:49], v[180:181], v[148:149]
	v_add_f64 v[156:157], v[156:157], -v[194:195]
	v_mul_f64 v[194:195], v[196:197], s[30:31]
	v_add_f64 v[176:177], v[231:232], -v[176:177]
	v_add_f64 v[58:59], v[156:157], v[58:59]
	v_add_f64 v[170:171], v[194:195], v[170:171]
	v_mul_f64 v[194:195], v[223:224], s[16:17]
	v_add_f64 v[30:31], v[176:177], v[132:133]
	v_add_f64 v[34:35], v[170:171], v[34:35]
	v_add_f64 v[32:33], v[32:33], -v[194:195]
	v_mul_f64 v[194:195], v[196:197], s[20:21]
	v_add_f64 v[34:35], v[172:173], v[34:35]
	v_add_f64 v[32:33], v[32:33], v[36:37]
	;; [unrolled: 1-line block ×3, first 2 shown]
	v_mul_f64 v[194:195], v[223:224], s[34:35]
	v_mul_f64 v[36:37], v[235:236], s[24:25]
	v_add_f64 v[20:21], v[20:21], v[32:33]
	v_add_f64 v[16:17], v[28:29], v[16:17]
	v_add_f64 v[4:5], v[4:5], -v[194:195]
	v_mul_f64 v[194:195], v[196:197], s[2:3]
	v_add_f64 v[26:27], v[36:37], v[26:27]
	v_mul_f64 v[28:29], v[241:242], s[40:41]
	v_add_f64 v[4:5], v[4:5], v[14:15]
	v_add_f64 v[194:195], v[194:195], v[198:199]
	v_mul_f64 v[198:199], v[223:224], s[38:39]
	v_add_f64 v[28:29], v[6:7], -v[28:29]
	v_add_f64 v[4:5], v[0:1], v[4:5]
	v_add_f64 v[12:13], v[194:195], v[12:13]
	v_add_f64 v[146:147], v[146:147], -v[198:199]
	v_mul_f64 v[198:199], v[196:197], s[26:27]
	v_mul_f64 v[196:197], v[196:197], s[24:25]
	v_add_f64 v[12:13], v[140:141], v[12:13]
	v_add_f64 v[14:15], v[146:147], v[22:23]
	;; [unrolled: 1-line block ×3, first 2 shown]
	s_waitcnt vmcnt(0)
	v_add_f64 v[200:201], v[208:209], -v[200:201]
	s_clause 0x5
	buffer_load_dword v208, off, s[48:51], 0 offset:484
	buffer_load_dword v209, off, s[48:51], 0 offset:488
	;; [unrolled: 1-line block ×6, first 2 shown]
	v_add_f64 v[24:25], v[198:199], v[24:25]
	v_add_f64 v[22:23], v[200:201], v[30:31]
	;; [unrolled: 1-line block ×3, first 2 shown]
	s_waitcnt vmcnt(4)
	v_add_f64 v[196:197], v[196:197], v[208:209]
	v_mul_f64 v[208:209], v[178:179], s[34:35]
	s_waitcnt vmcnt(0)
	v_add_f64 v[60:61], v[60:61], v[64:65]
	s_clause 0x7
	buffer_load_dword v64, off, s[48:51], 0 offset:212
	buffer_load_dword v65, off, s[48:51], 0 offset:216
	;; [unrolled: 1-line block ×8, first 2 shown]
	v_add_f64 v[154:155], v[164:165], -v[154:155]
	v_add_f64 v[30:31], v[196:197], v[48:49]
	v_mul_f64 v[48:49], v[241:242], s[22:23]
	v_add_f64 v[158:159], v[158:159], -v[208:209]
	v_add_f64 v[22:23], v[154:155], v[22:23]
	v_add_f64 v[30:31], v[60:61], v[30:31]
	v_add_f64 v[36:37], v[144:145], -v[48:49]
	v_add_f64 v[60:61], v[18:19], v[16:17]
	v_add_f64 v[58:59], v[158:159], v[58:59]
	s_waitcnt vmcnt(6)
	v_add_f64 v[52:53], v[52:53], v[64:65]
	s_waitcnt vmcnt(4)
	v_add_f64 v[10:11], v[56:57], v[10:11]
	v_mul_f64 v[56:57], v[235:236], s[26:27]
	v_mul_f64 v[64:65], v[241:242], s[18:19]
	s_waitcnt vmcnt(2)
	v_add_f64 v[52:53], v[52:53], v[132:133]
	v_mul_f64 v[132:133], v[235:236], s[2:3]
	v_add_f64 v[48:49], v[56:57], v[190:191]
	v_add_f64 v[56:57], v[247:248], -v[66:67]
	v_add_f64 v[38:39], v[38:39], -v[64:65]
	v_mul_f64 v[64:65], v[235:236], s[14:15]
	v_add_f64 v[66:67], v[132:133], v[243:244]
	v_add_f64 v[132:133], v[239:240], -v[134:135]
	v_add_f64 v[134:135], v[136:137], v[237:238]
	s_waitcnt vmcnt(0)
	v_add_f64 v[136:137], v[10:11], v[0:1]
	s_clause 0x1
	buffer_load_dword v0, off, s[48:51], 0 offset:260
	buffer_load_dword v1, off, s[48:51], 0 offset:264
	v_add_f64 v[32:33], v[64:65], v[2:3]
	v_add_f64 v[64:65], v[142:143], v[14:15]
	;; [unrolled: 1-line block ×9, first 2 shown]
	s_clause 0x1
	buffer_load_dword v24, off, s[48:51], 0 offset:372
	buffer_load_dword v25, off, s[48:51], 0 offset:376
	v_add_f64 v[22:23], v[132:133], v[22:23]
	v_add_f64 v[20:21], v[134:135], v[30:31]
	;; [unrolled: 1-line block ×3, first 2 shown]
	s_waitcnt vmcnt(2)
	v_add_f64 v[52:53], v[52:53], v[0:1]
	v_add_f64 v[0:1], v[54:55], v[8:9]
	;; [unrolled: 1-line block ×3, first 2 shown]
	s_waitcnt vmcnt(0)
	v_add_f64 v[26:27], v[136:137], v[24:25]
	s_clause 0x3
	buffer_load_dword v24, off, s[48:51], 0 offset:380
	buffer_load_dword v25, off, s[48:51], 0 offset:384
	;; [unrolled: 1-line block ×4, first 2 shown]
	s_waitcnt vmcnt(2)
	v_add_f64 v[24:25], v[52:53], v[24:25]
	s_waitcnt vmcnt(1)
	v_mul_u32_u24_sdwa v28, v28, v138 dst_sel:DWORD dst_unused:UNUSED_PAD src0_sel:WORD_0 src1_sel:DWORD
	s_waitcnt vmcnt(0)
	v_add_lshl_u32 v28, v28, v29, 4
	ds_write_b128 v28, v[104:107] offset:1120
	ds_write_b128 v28, v[108:111] offset:1280
	;; [unrolled: 1-line block ×11, first 2 shown]
	ds_write_b128 v28, v[24:27]
	ds_write_b128 v28, v[40:43] offset:1920
.LBB0_13:
	s_or_b32 exec_lo, exec_lo, s1
	s_waitcnt lgkmcnt(0)
	s_barrier
	buffer_gl0_inv
	ds_read_b128 v[136:139], v255
	ds_read_b128 v[156:159], v255 offset:4160
	ds_read_b128 v[152:155], v255 offset:8320
	;; [unrolled: 1-line block ×6, first 2 shown]
	s_and_saveexec_b32 s1, s0
	s_cbranch_execz .LBB0_15
; %bb.14:
	ds_read_b128 v[104:107], v255 offset:2912
	ds_read_b128 v[108:111], v255 offset:7072
	;; [unrolled: 1-line block ×7, first 2 shown]
	s_waitcnt lgkmcnt(0)
	buffer_store_dword v0, off, s[48:51], 0 offset:4 ; 4-byte Folded Spill
	buffer_store_dword v1, off, s[48:51], 0 offset:8 ; 4-byte Folded Spill
	;; [unrolled: 1-line block ×4, first 2 shown]
.LBB0_15:
	s_or_b32 exec_lo, exec_lo, s1
	s_waitcnt lgkmcnt(5)
	v_mul_f64 v[0:1], v[94:95], v[158:159]
	v_mul_f64 v[2:3], v[94:95], v[156:157]
	s_waitcnt lgkmcnt(4)
	v_mul_f64 v[4:5], v[90:91], v[154:155]
	v_mul_f64 v[6:7], v[90:91], v[152:153]
	;; [unrolled: 3-line block ×3, first 2 shown]
	v_mul_f64 v[12:13], v[102:103], v[150:151]
	v_mul_f64 v[14:15], v[102:103], v[148:149]
	;; [unrolled: 1-line block ×6, first 2 shown]
	s_mov_b32 s12, 0x37e14327
	s_mov_b32 s16, 0xe976ee23
	;; [unrolled: 1-line block ×10, first 2 shown]
	v_fma_f64 v[0:1], v[92:93], v[156:157], v[0:1]
	v_fma_f64 v[2:3], v[92:93], v[158:159], -v[2:3]
	v_fma_f64 v[4:5], v[88:89], v[152:153], v[4:5]
	v_fma_f64 v[6:7], v[88:89], v[154:155], -v[6:7]
	;; [unrolled: 2-line block ×6, first 2 shown]
	s_mov_b32 s15, 0xbff2aaaa
	s_mov_b32 s18, 0x5476071b
	;; [unrolled: 1-line block ×10, first 2 shown]
	s_waitcnt_vscnt null, 0x0
	s_barrier
	buffer_gl0_inv
	v_add_f64 v[24:25], v[0:1], v[8:9]
	v_add_f64 v[26:27], v[2:3], v[10:11]
	;; [unrolled: 1-line block ×4, first 2 shown]
	v_add_f64 v[4:5], v[4:5], -v[12:13]
	v_add_f64 v[6:7], v[6:7], -v[14:15]
	v_add_f64 v[12:13], v[16:17], v[20:21]
	v_add_f64 v[14:15], v[18:19], v[22:23]
	v_add_f64 v[16:17], v[20:21], -v[16:17]
	v_add_f64 v[18:19], v[22:23], -v[18:19]
	v_add_f64 v[8:9], v[0:1], -v[8:9]
	v_add_f64 v[10:11], v[2:3], -v[10:11]
	v_add_f64 v[0:1], v[28:29], v[24:25]
	v_add_f64 v[2:3], v[30:31], v[26:27]
	v_add_f64 v[20:21], v[24:25], -v[12:13]
	v_add_f64 v[22:23], v[26:27], -v[14:15]
	;; [unrolled: 1-line block ×6, first 2 shown]
	v_add_f64 v[4:5], v[16:17], v[4:5]
	v_add_f64 v[6:7], v[18:19], v[6:7]
	v_add_f64 v[16:17], v[8:9], -v[16:17]
	v_add_f64 v[18:19], v[10:11], -v[18:19]
	;; [unrolled: 1-line block ×4, first 2 shown]
	v_add_f64 v[48:49], v[12:13], v[0:1]
	v_add_f64 v[50:51], v[14:15], v[2:3]
	v_add_f64 v[12:13], v[12:13], -v[28:29]
	v_add_f64 v[14:15], v[14:15], -v[30:31]
	v_mul_f64 v[20:21], v[20:21], s[12:13]
	v_mul_f64 v[22:23], v[22:23], s[12:13]
	;; [unrolled: 1-line block ×6, first 2 shown]
	v_add_f64 v[4:5], v[4:5], v[8:9]
	v_add_f64 v[6:7], v[6:7], v[10:11]
	;; [unrolled: 1-line block ×4, first 2 shown]
	v_mul_f64 v[28:29], v[12:13], s[6:7]
	v_mul_f64 v[30:31], v[14:15], s[6:7]
	v_fma_f64 v[8:9], v[12:13], s[6:7], v[20:21]
	v_fma_f64 v[10:11], v[14:15], s[6:7], v[22:23]
	;; [unrolled: 1-line block ×4, first 2 shown]
	v_fma_f64 v[32:33], v[36:37], s[2:3], -v[32:33]
	v_fma_f64 v[34:35], v[38:39], s[2:3], -v[34:35]
	;; [unrolled: 1-line block ×6, first 2 shown]
	v_fma_f64 v[36:37], v[48:49], s[14:15], v[0:1]
	v_fma_f64 v[38:39], v[50:51], s[14:15], v[2:3]
	v_fma_f64 v[24:25], v[24:25], s[18:19], -v[28:29]
	v_fma_f64 v[26:27], v[26:27], s[18:19], -v[30:31]
	v_fma_f64 v[28:29], v[4:5], s[26:27], v[12:13]
	v_fma_f64 v[30:31], v[6:7], s[26:27], v[14:15]
	;; [unrolled: 1-line block ×6, first 2 shown]
	v_add_f64 v[52:53], v[8:9], v[36:37]
	v_add_f64 v[54:55], v[10:11], v[38:39]
	;; [unrolled: 1-line block ×7, first 2 shown]
	v_add_f64 v[6:7], v[54:55], -v[28:29]
	v_add_f64 v[8:9], v[50:51], v[20:21]
	v_add_f64 v[10:11], v[22:23], -v[48:49]
	v_add_f64 v[12:13], v[16:17], -v[34:35]
	v_add_f64 v[14:15], v[32:33], v[18:19]
	v_add_f64 v[16:17], v[34:35], v[16:17]
	v_add_f64 v[18:19], v[18:19], -v[32:33]
	v_add_f64 v[20:21], v[20:21], -v[50:51]
	v_add_f64 v[22:23], v[48:49], v[22:23]
	v_add_f64 v[24:25], v[52:53], -v[30:31]
	v_add_f64 v[26:27], v[28:29], v[54:55]
	ds_write_b128 v63, v[0:3]
	ds_write_b128 v63, v[4:7] offset:2080
	ds_write_b128 v63, v[8:11] offset:4160
	;; [unrolled: 1-line block ×6, first 2 shown]
	s_and_saveexec_b32 s1, s0
	s_cbranch_execz .LBB0_17
; %bb.16:
	s_clause 0xf
	buffer_load_dword v48, off, s[48:51], 0 offset:356
	buffer_load_dword v49, off, s[48:51], 0 offset:360
	;; [unrolled: 1-line block ×16, first 2 shown]
	v_mul_f64 v[4:5], v[70:71], v[40:41]
	v_mul_f64 v[14:15], v[70:71], v[42:43]
	v_fma_f64 v[4:5], v[68:69], v[42:43], -v[4:5]
	v_fma_f64 v[14:15], v[68:69], v[40:41], v[14:15]
	s_waitcnt vmcnt(10)
	v_mul_f64 v[0:1], v[50:51], v[52:53]
	s_waitcnt vmcnt(4)
	v_mul_f64 v[2:3], v[34:35], v[108:109]
	v_mul_f64 v[8:9], v[34:35], v[110:111]
	s_clause 0x7
	buffer_load_dword v34, off, s[48:51], 0 offset:340
	buffer_load_dword v35, off, s[48:51], 0 offset:344
	;; [unrolled: 1-line block ×8, first 2 shown]
	s_waitcnt vmcnt(8)
	v_mul_f64 v[6:7], v[30:31], v[76:77]
	v_mul_f64 v[10:11], v[50:51], v[54:55]
	;; [unrolled: 1-line block ×3, first 2 shown]
	v_fma_f64 v[0:1], v[48:49], v[54:55], -v[0:1]
	v_fma_f64 v[2:3], v[32:33], v[110:111], -v[2:3]
	v_fma_f64 v[8:9], v[32:33], v[108:109], v[8:9]
	v_fma_f64 v[6:7], v[28:29], v[78:79], -v[6:7]
	v_fma_f64 v[10:11], v[48:49], v[52:53], v[10:11]
	v_fma_f64 v[12:13], v[28:29], v[76:77], v[12:13]
	v_add_f64 v[28:29], v[8:9], v[10:11]
	v_add_f64 v[30:31], v[12:13], v[14:15]
	v_add_f64 v[12:13], v[12:13], -v[14:15]
	v_add_f64 v[8:9], v[8:9], -v[10:11]
	s_waitcnt vmcnt(4)
	v_mul_f64 v[16:17], v[36:37], v[46:47]
	s_waitcnt vmcnt(0)
	v_mul_f64 v[18:19], v[26:27], v[74:75]
	v_mul_f64 v[20:21], v[26:27], v[72:73]
	;; [unrolled: 1-line block ×3, first 2 shown]
	v_add_f64 v[26:27], v[6:7], v[4:5]
	v_add_f64 v[4:5], v[6:7], -v[4:5]
	v_add_f64 v[6:7], v[2:3], -v[0:1]
	v_fma_f64 v[16:17], v[34:35], v[44:45], v[16:17]
	v_fma_f64 v[18:19], v[24:25], v[72:73], v[18:19]
	v_fma_f64 v[20:21], v[24:25], v[74:75], -v[20:21]
	v_fma_f64 v[22:23], v[34:35], v[46:47], -v[22:23]
	v_add_f64 v[24:25], v[2:3], v[0:1]
	v_add_f64 v[0:1], v[30:31], v[28:29]
	v_add_f64 v[34:35], v[12:13], -v[8:9]
	v_add_f64 v[38:39], v[4:5], -v[6:7]
	v_add_f64 v[32:33], v[16:17], -v[18:19]
	v_add_f64 v[16:17], v[18:19], v[16:17]
	v_add_f64 v[14:15], v[20:21], v[22:23]
	;; [unrolled: 1-line block ×3, first 2 shown]
	v_add_f64 v[18:19], v[22:23], -v[20:21]
	v_mul_f64 v[44:45], v[34:35], s[2:3]
	v_mul_f64 v[46:47], v[38:39], s[2:3]
	v_add_f64 v[2:3], v[32:33], -v[12:13]
	v_add_f64 v[22:23], v[28:29], -v[16:17]
	;; [unrolled: 1-line block ×3, first 2 shown]
	v_add_f64 v[10:11], v[14:15], v[10:11]
	v_add_f64 v[14:15], v[14:15], -v[26:27]
	v_add_f64 v[36:37], v[18:19], -v[4:5]
	v_add_f64 v[40:41], v[16:17], v[0:1]
	v_add_f64 v[16:17], v[16:17], -v[30:31]
	v_add_f64 v[42:43], v[8:9], -v[32:33]
	v_add_f64 v[12:13], v[32:33], v[12:13]
	v_add_f64 v[4:5], v[18:19], v[4:5]
	v_add_f64 v[18:19], v[6:7], -v[18:19]
	v_add_f64 v[24:25], v[26:27], -v[24:25]
	;; [unrolled: 1-line block ×3, first 2 shown]
	v_mul_f64 v[32:33], v[2:3], s[16:17]
	v_mul_f64 v[22:23], v[22:23], s[12:13]
	;; [unrolled: 1-line block ×3, first 2 shown]
	v_add_f64 v[2:3], v[106:107], v[10:11]
	v_mul_f64 v[26:27], v[14:15], s[6:7]
	v_mul_f64 v[36:37], v[36:37], s[16:17]
	v_add_f64 v[0:1], v[104:105], v[40:41]
	v_mul_f64 v[30:31], v[16:17], s[6:7]
	v_add_f64 v[8:9], v[12:13], v[8:9]
	v_add_f64 v[4:5], v[4:5], v[6:7]
	v_fma_f64 v[6:7], v[42:43], s[22:23], v[32:33]
	v_fma_f64 v[32:33], v[34:35], s[2:3], -v[32:33]
	v_fma_f64 v[12:13], v[14:15], s[6:7], v[20:21]
	v_fma_f64 v[14:15], v[16:17], s[6:7], v[22:23]
	v_fma_f64 v[16:17], v[42:43], s[24:25], -v[44:45]
	v_fma_f64 v[10:11], v[10:11], s[14:15], v[2:3]
	v_fma_f64 v[20:21], v[24:25], s[20:21], -v[20:21]
	v_fma_f64 v[24:25], v[24:25], s[18:19], -v[26:27]
	v_fma_f64 v[26:27], v[18:19], s[22:23], v[36:37]
	v_fma_f64 v[18:19], v[18:19], s[24:25], -v[46:47]
	;; [unrolled: 3-line block ×3, first 2 shown]
	v_fma_f64 v[28:29], v[28:29], s[18:19], -v[30:31]
	v_fma_f64 v[30:31], v[8:9], s[26:27], v[6:7]
	v_fma_f64 v[16:17], v[8:9], s[26:27], v[16:17]
	;; [unrolled: 1-line block ×3, first 2 shown]
	v_add_f64 v[12:13], v[12:13], v[10:11]
	v_add_f64 v[24:25], v[24:25], v[10:11]
	v_fma_f64 v[32:33], v[4:5], s[26:27], v[26:27]
	v_fma_f64 v[38:39], v[4:5], s[26:27], v[18:19]
	;; [unrolled: 1-line block ×3, first 2 shown]
	v_add_f64 v[34:35], v[14:15], v[36:37]
	v_add_f64 v[20:21], v[20:21], v[10:11]
	;; [unrolled: 1-line block ×4, first 2 shown]
	v_add_f64 v[26:27], v[12:13], -v[30:31]
	v_add_f64 v[14:15], v[24:25], -v[8:9]
	v_add_f64 v[18:19], v[8:9], v[24:25]
	v_add_f64 v[6:7], v[30:31], v[12:13]
	;; [unrolled: 1-line block ×4, first 2 shown]
	v_add_f64 v[22:23], v[20:21], -v[16:17]
	v_add_f64 v[20:21], v[38:39], v[40:41]
	v_add_f64 v[16:17], v[28:29], -v[4:5]
	v_add_f64 v[12:13], v[4:5], v[28:29]
	v_add_f64 v[8:9], v[40:41], -v[38:39]
	v_add_f64 v[4:5], v[34:35], -v[32:33]
	v_mov_b32_e32 v28, 4
	v_lshlrev_b32_sdwa v28, v28, v62 dst_sel:DWORD dst_unused:UNUSED_PAD src0_sel:DWORD src1_sel:WORD_0
	ds_write_b128 v28, v[0:3] offset:14560
	ds_write_b128 v28, v[24:27] offset:16640
	;; [unrolled: 1-line block ×7, first 2 shown]
.LBB0_17:
	s_or_b32 exec_lo, exec_lo, s1
	s_waitcnt lgkmcnt(0)
	s_barrier
	buffer_gl0_inv
	ds_read_b128 v[0:3], v255 offset:14560
	ds_read_b128 v[4:7], v255 offset:17472
	;; [unrolled: 1-line block ×6, first 2 shown]
	s_clause 0x1
	buffer_load_dword v24, off, s[48:51], 0 offset:36
	buffer_load_dword v25, off, s[48:51], 0 offset:40
	s_mul_i32 s3, s9, 0xb60
	s_mul_hi_u32 s6, s8, 0xb60
	s_mul_i32 s2, s8, 0xb60
	s_add_i32 s3, s6, s3
	s_mov_b32 s0, 0x12012012
	s_mov_b32 s1, 0x3f420120
	s_waitcnt lgkmcnt(5)
	v_mul_f64 v[40:41], v[114:115], v[2:3]
	v_mul_f64 v[42:43], v[114:115], v[0:1]
	s_waitcnt lgkmcnt(4)
	v_mul_f64 v[44:45], v[118:119], v[6:7]
	v_mul_f64 v[46:47], v[118:119], v[4:5]
	;; [unrolled: 3-line block ×5, first 2 shown]
	v_fma_f64 v[0:1], v[112:113], v[0:1], v[40:41]
	v_fma_f64 v[2:3], v[112:113], v[2:3], -v[42:43]
	v_fma_f64 v[4:5], v[116:117], v[4:5], v[44:45]
	v_fma_f64 v[6:7], v[116:117], v[6:7], -v[46:47]
	;; [unrolled: 2-line block ×5, first 2 shown]
	s_waitcnt lgkmcnt(0)
	v_add_f64 v[16:17], v[20:21], -v[16:17]
	v_add_f64 v[18:19], v[22:23], -v[18:19]
	v_fma_f64 v[20:21], v[20:21], 2.0, -v[16:17]
	v_fma_f64 v[22:23], v[22:23], 2.0, -v[18:19]
	s_waitcnt vmcnt(1)
	v_mov_b32_e32 v62, v24
	s_waitcnt vmcnt(0)
	ds_read_b128 v[24:27], v255
	ds_read_b128 v[28:31], v255 offset:2912
	ds_read_b128 v[32:35], v255 offset:5824
	;; [unrolled: 1-line block ×3, first 2 shown]
	buffer_load_dword v44, off, s[48:51], 0 ; 4-byte Folded Reload
	v_mad_u64_u32 v[60:61], null, s10, v62, 0
	v_mov_b32_e32 v42, v61
	s_waitcnt lgkmcnt(3)
	v_add_f64 v[0:1], v[24:25], -v[0:1]
	v_add_f64 v[2:3], v[26:27], -v[2:3]
	s_waitcnt lgkmcnt(2)
	v_add_f64 v[4:5], v[28:29], -v[4:5]
	v_add_f64 v[6:7], v[30:31], -v[6:7]
	s_waitcnt lgkmcnt(1)
	v_add_f64 v[8:9], v[32:33], -v[8:9]
	v_add_f64 v[10:11], v[34:35], -v[10:11]
	s_waitcnt lgkmcnt(0)
	v_add_f64 v[12:13], v[36:37], -v[12:13]
	v_add_f64 v[14:15], v[38:39], -v[14:15]
	v_mad_u64_u32 v[42:43], null, s11, v62, v[42:43]
	v_mov_b32_e32 v61, v42
	v_fma_f64 v[24:25], v[24:25], 2.0, -v[0:1]
	v_fma_f64 v[26:27], v[26:27], 2.0, -v[2:3]
	;; [unrolled: 1-line block ×8, first 2 shown]
	ds_write_b128 v255, v[0:3] offset:14560
	ds_write_b128 v255, v[4:7] offset:17472
	;; [unrolled: 1-line block ×5, first 2 shown]
	ds_write_b128 v255, v[24:27]
	ds_write_b128 v255, v[28:31] offset:2912
	ds_write_b128 v255, v[32:35] offset:5824
	ds_write_b128 v255, v[36:39] offset:8736
	ds_write_b128 v255, v[20:23] offset:11648
	s_waitcnt vmcnt(0) lgkmcnt(0)
	s_barrier
	buffer_gl0_inv
	ds_read_b128 v[0:3], v255
	ds_read_b128 v[4:7], v255 offset:2912
	ds_read_b128 v[8:11], v255 offset:5824
	;; [unrolled: 1-line block ×9, first 2 shown]
	s_clause 0x7
	buffer_load_dword v90, off, s[48:51], 0 offset:20
	buffer_load_dword v91, off, s[48:51], 0 offset:24
	;; [unrolled: 1-line block ×8, first 2 shown]
	v_mad_u64_u32 v[40:41], null, s8, v44, 0
	v_mad_u64_u32 v[43:44], null, s9, v44, v[41:42]
	v_mov_b32_e32 v41, v43
	v_lshlrev_b64 v[42:43], 4, v[60:61]
	v_lshlrev_b64 v[40:41], 4, v[40:41]
	v_add_co_u32 v42, vcc_lo, s4, v42
	v_add_co_ci_u32_e32 v43, vcc_lo, s5, v43, vcc_lo
	v_add_co_u32 v40, vcc_lo, v42, v40
	v_add_co_ci_u32_e32 v41, vcc_lo, v43, v41, vcc_lo
	;; [unrolled: 2-line block ×6, first 2 shown]
	s_waitcnt vmcnt(4) lgkmcnt(9)
	v_mul_f64 v[48:49], v[92:93], v[2:3]
	v_mul_f64 v[50:51], v[92:93], v[0:1]
	s_waitcnt vmcnt(0) lgkmcnt(8)
	v_mul_f64 v[52:53], v[104:105], v[6:7]
	v_mul_f64 v[54:55], v[104:105], v[4:5]
	s_clause 0xb
	buffer_load_dword v104, off, s[48:51], 0 offset:108
	buffer_load_dword v105, off, s[48:51], 0 offset:112
	;; [unrolled: 1-line block ×12, first 2 shown]
	v_fma_f64 v[0:1], v[90:91], v[0:1], v[48:49]
	v_fma_f64 v[2:3], v[90:91], v[2:3], -v[50:51]
	v_fma_f64 v[4:5], v[102:103], v[4:5], v[52:53]
	v_fma_f64 v[6:7], v[102:103], v[6:7], -v[54:55]
	v_add_co_u32 v48, vcc_lo, v64, s2
	v_add_co_ci_u32_e32 v49, vcc_lo, s3, v65, vcc_lo
	v_add_co_u32 v50, vcc_lo, v48, s2
	v_add_co_ci_u32_e32 v51, vcc_lo, s3, v49, vcc_lo
	;; [unrolled: 2-line block ×3, first 2 shown]
	v_mul_f64 v[0:1], v[0:1], s[0:1]
	v_mul_f64 v[2:3], v[2:3], s[0:1]
	;; [unrolled: 1-line block ×4, first 2 shown]
	s_waitcnt vmcnt(8) lgkmcnt(7)
	v_mul_f64 v[56:57], v[106:107], v[10:11]
	v_mul_f64 v[58:59], v[106:107], v[8:9]
	s_waitcnt vmcnt(0) lgkmcnt(5)
	v_mul_f64 v[66:67], v[94:95], v[18:19]
	v_mul_f64 v[68:69], v[94:95], v[16:17]
	s_clause 0x7
	buffer_load_dword v94, off, s[48:51], 0 offset:60
	buffer_load_dword v95, off, s[48:51], 0 offset:64
	;; [unrolled: 1-line block ×8, first 2 shown]
	v_mul_f64 v[60:61], v[100:101], v[14:15]
	v_mul_f64 v[62:63], v[100:101], v[12:13]
	v_fma_f64 v[8:9], v[104:105], v[8:9], v[56:57]
	v_fma_f64 v[10:11], v[104:105], v[10:11], -v[58:59]
	v_fma_f64 v[16:17], v[92:93], v[16:17], v[66:67]
	v_fma_f64 v[18:19], v[92:93], v[18:19], -v[68:69]
	v_fma_f64 v[12:13], v[98:99], v[12:13], v[60:61]
	v_fma_f64 v[14:15], v[98:99], v[14:15], -v[62:63]
	v_mul_f64 v[8:9], v[8:9], s[0:1]
	v_mul_f64 v[10:11], v[10:11], s[0:1]
	;; [unrolled: 1-line block ×6, first 2 shown]
	s_waitcnt vmcnt(4) lgkmcnt(4)
	v_mul_f64 v[70:71], v[96:97], v[22:23]
	s_waitcnt vmcnt(0) lgkmcnt(3)
	v_mul_f64 v[74:75], v[108:109], v[26:27]
	v_mul_f64 v[76:77], v[108:109], v[24:25]
	s_clause 0x3
	buffer_load_dword v108, off, s[48:51], 0 offset:140
	buffer_load_dword v109, off, s[48:51], 0 offset:144
	;; [unrolled: 1-line block ×4, first 2 shown]
	v_mul_f64 v[72:73], v[96:97], v[20:21]
	v_fma_f64 v[20:21], v[94:95], v[20:21], v[70:71]
	v_fma_f64 v[24:25], v[106:107], v[24:25], v[74:75]
	v_fma_f64 v[26:27], v[106:107], v[26:27], -v[76:77]
	v_fma_f64 v[22:23], v[94:95], v[22:23], -v[72:73]
	v_mul_f64 v[20:21], v[20:21], s[0:1]
	v_mul_f64 v[24:25], v[24:25], s[0:1]
	;; [unrolled: 1-line block ×4, first 2 shown]
	s_waitcnt vmcnt(0) lgkmcnt(2)
	v_mul_f64 v[78:79], v[110:111], v[30:31]
	v_mul_f64 v[80:81], v[110:111], v[28:29]
	s_clause 0x3
	buffer_load_dword v110, off, s[48:51], 0 offset:156
	buffer_load_dword v111, off, s[48:51], 0 offset:160
	;; [unrolled: 1-line block ×4, first 2 shown]
	v_fma_f64 v[28:29], v[108:109], v[28:29], v[78:79]
	v_fma_f64 v[30:31], v[108:109], v[30:31], -v[80:81]
	v_mul_f64 v[28:29], v[28:29], s[0:1]
	v_mul_f64 v[30:31], v[30:31], s[0:1]
	s_waitcnt vmcnt(0) lgkmcnt(1)
	v_mul_f64 v[82:83], v[112:113], v[34:35]
	v_mul_f64 v[84:85], v[112:113], v[32:33]
	s_clause 0x3
	buffer_load_dword v112, off, s[48:51], 0 offset:172
	buffer_load_dword v113, off, s[48:51], 0 offset:176
	;; [unrolled: 1-line block ×4, first 2 shown]
	global_store_dwordx4 v[40:41], v[0:3], off
	global_store_dwordx4 v[42:43], v[4:7], off
	;; [unrolled: 1-line block ×4, first 2 shown]
	v_add_co_u32 v0, vcc_lo, v52, s2
	v_add_co_ci_u32_e32 v1, vcc_lo, s3, v53, vcc_lo
	global_store_dwordx4 v[64:65], v[16:19], off
	v_add_co_u32 v2, vcc_lo, v0, s2
	v_add_co_ci_u32_e32 v3, vcc_lo, s3, v1, vcc_lo
	v_fma_f64 v[32:33], v[110:111], v[32:33], v[82:83]
	v_fma_f64 v[34:35], v[110:111], v[34:35], -v[84:85]
	v_mul_f64 v[32:33], v[32:33], s[0:1]
	v_mul_f64 v[34:35], v[34:35], s[0:1]
	s_waitcnt vmcnt(0) lgkmcnt(0)
	v_mul_f64 v[86:87], v[114:115], v[38:39]
	v_mul_f64 v[88:89], v[114:115], v[36:37]
	v_fma_f64 v[36:37], v[112:113], v[36:37], v[86:87]
	v_fma_f64 v[38:39], v[112:113], v[38:39], -v[88:89]
	v_mul_f64 v[36:37], v[36:37], s[0:1]
	v_mul_f64 v[38:39], v[38:39], s[0:1]
	global_store_dwordx4 v[48:49], v[20:23], off
	global_store_dwordx4 v[50:51], v[24:27], off
	;; [unrolled: 1-line block ×5, first 2 shown]
.LBB0_18:
	s_endpgm
	.section	.rodata,"a",@progbits
	.p2align	6, 0x0
	.amdhsa_kernel bluestein_single_back_len1820_dim1_dp_op_CI_CI
		.amdhsa_group_segment_fixed_size 29120
		.amdhsa_private_segment_fixed_size 512
		.amdhsa_kernarg_size 104
		.amdhsa_user_sgpr_count 6
		.amdhsa_user_sgpr_private_segment_buffer 1
		.amdhsa_user_sgpr_dispatch_ptr 0
		.amdhsa_user_sgpr_queue_ptr 0
		.amdhsa_user_sgpr_kernarg_segment_ptr 1
		.amdhsa_user_sgpr_dispatch_id 0
		.amdhsa_user_sgpr_flat_scratch_init 0
		.amdhsa_user_sgpr_private_segment_size 0
		.amdhsa_wavefront_size32 1
		.amdhsa_uses_dynamic_stack 0
		.amdhsa_system_sgpr_private_segment_wavefront_offset 1
		.amdhsa_system_sgpr_workgroup_id_x 1
		.amdhsa_system_sgpr_workgroup_id_y 0
		.amdhsa_system_sgpr_workgroup_id_z 0
		.amdhsa_system_sgpr_workgroup_info 0
		.amdhsa_system_vgpr_workitem_id 0
		.amdhsa_next_free_vgpr 256
		.amdhsa_next_free_sgpr 52
		.amdhsa_reserve_vcc 1
		.amdhsa_reserve_flat_scratch 0
		.amdhsa_float_round_mode_32 0
		.amdhsa_float_round_mode_16_64 0
		.amdhsa_float_denorm_mode_32 3
		.amdhsa_float_denorm_mode_16_64 3
		.amdhsa_dx10_clamp 1
		.amdhsa_ieee_mode 1
		.amdhsa_fp16_overflow 0
		.amdhsa_workgroup_processor_mode 1
		.amdhsa_memory_ordered 1
		.amdhsa_forward_progress 0
		.amdhsa_shared_vgpr_count 0
		.amdhsa_exception_fp_ieee_invalid_op 0
		.amdhsa_exception_fp_denorm_src 0
		.amdhsa_exception_fp_ieee_div_zero 0
		.amdhsa_exception_fp_ieee_overflow 0
		.amdhsa_exception_fp_ieee_underflow 0
		.amdhsa_exception_fp_ieee_inexact 0
		.amdhsa_exception_int_div_zero 0
	.end_amdhsa_kernel
	.text
.Lfunc_end0:
	.size	bluestein_single_back_len1820_dim1_dp_op_CI_CI, .Lfunc_end0-bluestein_single_back_len1820_dim1_dp_op_CI_CI
                                        ; -- End function
	.section	.AMDGPU.csdata,"",@progbits
; Kernel info:
; codeLenInByte = 24432
; NumSgprs: 54
; NumVgprs: 256
; ScratchSize: 512
; MemoryBound: 0
; FloatMode: 240
; IeeeMode: 1
; LDSByteSize: 29120 bytes/workgroup (compile time only)
; SGPRBlocks: 6
; VGPRBlocks: 31
; NumSGPRsForWavesPerEU: 54
; NumVGPRsForWavesPerEU: 256
; Occupancy: 4
; WaveLimiterHint : 1
; COMPUTE_PGM_RSRC2:SCRATCH_EN: 1
; COMPUTE_PGM_RSRC2:USER_SGPR: 6
; COMPUTE_PGM_RSRC2:TRAP_HANDLER: 0
; COMPUTE_PGM_RSRC2:TGID_X_EN: 1
; COMPUTE_PGM_RSRC2:TGID_Y_EN: 0
; COMPUTE_PGM_RSRC2:TGID_Z_EN: 0
; COMPUTE_PGM_RSRC2:TIDIG_COMP_CNT: 0
	.text
	.p2alignl 6, 3214868480
	.fill 48, 4, 3214868480
	.type	__hip_cuid_44c9e87b67e18ea5,@object ; @__hip_cuid_44c9e87b67e18ea5
	.section	.bss,"aw",@nobits
	.globl	__hip_cuid_44c9e87b67e18ea5
__hip_cuid_44c9e87b67e18ea5:
	.byte	0                               ; 0x0
	.size	__hip_cuid_44c9e87b67e18ea5, 1

	.ident	"AMD clang version 19.0.0git (https://github.com/RadeonOpenCompute/llvm-project roc-6.4.0 25133 c7fe45cf4b819c5991fe208aaa96edf142730f1d)"
	.section	".note.GNU-stack","",@progbits
	.addrsig
	.addrsig_sym __hip_cuid_44c9e87b67e18ea5
	.amdgpu_metadata
---
amdhsa.kernels:
  - .args:
      - .actual_access:  read_only
        .address_space:  global
        .offset:         0
        .size:           8
        .value_kind:     global_buffer
      - .actual_access:  read_only
        .address_space:  global
        .offset:         8
        .size:           8
        .value_kind:     global_buffer
      - .actual_access:  read_only
        .address_space:  global
        .offset:         16
        .size:           8
        .value_kind:     global_buffer
      - .actual_access:  read_only
        .address_space:  global
        .offset:         24
        .size:           8
        .value_kind:     global_buffer
      - .actual_access:  read_only
        .address_space:  global
        .offset:         32
        .size:           8
        .value_kind:     global_buffer
      - .offset:         40
        .size:           8
        .value_kind:     by_value
      - .address_space:  global
        .offset:         48
        .size:           8
        .value_kind:     global_buffer
      - .address_space:  global
        .offset:         56
        .size:           8
        .value_kind:     global_buffer
      - .address_space:  global
        .offset:         64
        .size:           8
        .value_kind:     global_buffer
      - .address_space:  global
        .offset:         72
        .size:           8
        .value_kind:     global_buffer
      - .offset:         80
        .size:           4
        .value_kind:     by_value
      - .address_space:  global
        .offset:         88
        .size:           8
        .value_kind:     global_buffer
      - .address_space:  global
        .offset:         96
        .size:           8
        .value_kind:     global_buffer
    .group_segment_fixed_size: 29120
    .kernarg_segment_align: 8
    .kernarg_segment_size: 104
    .language:       OpenCL C
    .language_version:
      - 2
      - 0
    .max_flat_workgroup_size: 182
    .name:           bluestein_single_back_len1820_dim1_dp_op_CI_CI
    .private_segment_fixed_size: 512
    .sgpr_count:     54
    .sgpr_spill_count: 0
    .symbol:         bluestein_single_back_len1820_dim1_dp_op_CI_CI.kd
    .uniform_work_group_size: 1
    .uses_dynamic_stack: false
    .vgpr_count:     256
    .vgpr_spill_count: 165
    .wavefront_size: 32
    .workgroup_processor_mode: 1
amdhsa.target:   amdgcn-amd-amdhsa--gfx1030
amdhsa.version:
  - 1
  - 2
...

	.end_amdgpu_metadata
